;; amdgpu-corpus repo=ROCm/aiter kind=harvested arch=n/a opt=n/a

/root/src/amdgpu-assembly/repos/ROCm__aiter/hsa/gfx942/fmoe_2stages/fmoe_stage1_bf16_pertokenInt8_g1u1_112x128_pf3.co:	file format elf64-amdgpu

Disassembly of section .text:

0000000000002a00 <_ZN5aiter46fmoe_stage1_bf16_pertokenInt8_g1u1_112x128_pf3E>:
	s_and_b32 s1, s1, 0xffff                                   // 000000002A00: 8601FF01 0000FFFF
	s_load_dwordx2 s[8:9], s[0:1], 0x0                         // 000000002A08: C0060200 00000000
	s_load_dwordx2 s[20:21], s[0:1], 0x10                      // 000000002A10: C0060500 00000010
	s_load_dwordx2 s[24:25], s[0:1], 0x20                      // 000000002A18: C0060600 00000020
	s_load_dwordx2 s[48:49], s[0:1], 0x30                      // 000000002A20: C0060C00 00000030
	s_load_dwordx2 s[28:29], s[0:1], 0x40                      // 000000002A28: C0060700 00000040
	s_load_dwordx2 s[32:33], s[0:1], 0x50                      // 000000002A30: C0060800 00000050
	s_load_dwordx2 s[36:37], s[0:1], 0x60                      // 000000002A38: C0060900 00000060
	s_load_dwordx2 s[12:13], s[0:1], 0x70                      // 000000002A40: C0060300 00000070
	s_load_dwordx2 s[44:45], s[0:1], 0x80                      // 000000002A48: C0060B00 00000080
	s_mov_b32 s89, 0                                           // 000000002A50: BED90080
	s_load_dword s64, s[0:1], 0x90                             // 000000002A54: C0021000 00000090
	s_load_dword s65, s[0:1], 0xa0                             // 000000002A5C: C0021040 000000A0
	s_load_dword s66, s[0:1], 0xb0                             // 000000002A64: C0021080 000000B0
	s_load_dword s67, s[0:1], 0xc0                             // 000000002A6C: C00210C0 000000C0
	s_load_dword s68, s[0:1], 0xd0                             // 000000002A74: C0021100 000000D0
	s_load_dword s69, s[0:1], 0xe0                             // 000000002A7C: C0021140 000000E0
	s_load_dword s71, s[0:1], 0xf0                             // 000000002A84: C00211C0 000000F0
	s_load_dword s72, s[0:1], 0x100                            // 000000002A8C: C0021200 00000100
	s_load_dword s74, s[0:1], 0x110                            // 000000002A94: C0021280 00000110
	s_load_dword s76, s[0:1], 0x120                            // 000000002A9C: C0021300 00000120
	s_load_dword s56, s[0:1], 0x130                            // 000000002AA4: C0020E00 00000130
	s_load_dword s88, s[0:1], 0x140                            // 000000002AAC: C0021600 00000140
	s_load_dword s89, s[0:1], 0x150                            // 000000002AB4: C0021640 00000150
	v_lshrrev_b32_e32 v1, 10, v0                               // 000000002ABC: 2002008A
	v_lshrrev_b32_e32 v2, 10, v1                               // 000000002AC0: 2004028A
	v_and_b32_e32 v2, 0x3ff, v2                                // 000000002AC4: 260404FF 000003FF
	v_and_b32_e32 v1, 0x3ff, v1                                // 000000002ACC: 260202FF 000003FF
	v_and_b32_e32 v0, 0x3ff, v0                                // 000000002AD4: 260000FF 000003FF
	v_lshrrev_b32_e32 v3, 6, v0                                // 000000002ADC: 20060086
	v_and_b32_e32 v0, 63, v0                                   // 000000002AE0: 260000BF
	s_mov_b32 s2, s2                                           // 000000002AE4: BE820002
	s_mov_b32 s3, s3                                           // 000000002AE8: BE830003
	s_mov_b32 s4, s4                                           // 000000002AEC: BE840004
	v_readfirstlane_b32 s7, v3                                 // 000000002AF0: 7E0E0503
	s_waitcnt lgkmcnt(0)                                       // 000000002AF4: BF8CC07F
	s_and_b32 s49, s49, 0xffff                                 // 000000002AF8: 8631FF31 0000FFFF
	s_load_dword s48, s[48:49], 0x0                            // 000000002B00: C0020C18 00000000
	s_and_b32 s45, s45, 0xffff                                 // 000000002B08: 862DFF2D 0000FFFF
	s_and_b32 s9, s9, 0xffff                                   // 000000002B10: 8609FF09 0000FFFF
	s_mul_i32 s60, s66, s68                                    // 000000002B18: 923C4442
	s_mul_i32 s61, s66, 4                                      // 000000002B1C: 923D8442
	s_mov_b32 s22, s60                                         // 000000002B20: BE96003C
	s_mov_b32 s26, -16                                         // 000000002B24: BE9A00D0
	s_mov_b32 s30, s61                                         // 000000002B28: BE9E003D
	s_mov_b32 s14, 0x1c0                                       // 000000002B2C: BE8E00FF 000001C0
	s_mov_b32 s38, -16                                         // 000000002B34: BEA600D0
	s_mov_b32 s10, -16                                         // 000000002B38: BE8A00D0
	s_mov_b32 s34, 0x200                                       // 000000002B3C: BEA200FF 00000200
	s_mov_b32 s23, 0x20000                                     // 000000002B44: BE9700FF 00020000
	s_mov_b32 s27, 0x20000                                     // 000000002B4C: BE9B00FF 00020000
	s_mov_b32 s31, 0x20000                                     // 000000002B54: BE9F00FF 00020000
	s_mov_b32 s35, 0x20000                                     // 000000002B5C: BEA300FF 00020000
	s_mov_b32 s15, 0x20000                                     // 000000002B64: BE8F00FF 00020000
	s_mov_b32 s39, 0x20000                                     // 000000002B6C: BEA700FF 00020000
	s_mov_b32 s11, 0x20000                                     // 000000002B74: BE8B00FF 00020000
	s_and_b32 s21, s21, 0xffff                                 // 000000002B7C: 8615FF15 0000FFFF
	s_and_b32 s25, s25, 0xffff                                 // 000000002B84: 8619FF19 0000FFFF
	s_and_b32 s29, s29, 0xffff                                 // 000000002B8C: 861DFF1D 0000FFFF
	s_and_b32 s33, s33, 0xffff                                 // 000000002B94: 8621FF21 0000FFFF
	s_and_b32 s13, s13, 0xffff                                 // 000000002B9C: 860DFF0D 0000FFFF
	s_and_b32 s37, s37, 0xffff                                 // 000000002BA4: 8625FF25 0000FFFF
	s_or_b32 s21, s21, 0x40000                                 // 000000002BAC: 8715FF15 00040000
	s_or_b32 s25, s25, 0x40000                                 // 000000002BB4: 8719FF19 00040000
	s_or_b32 s29, s29, 0x40000                                 // 000000002BBC: 871DFF1D 00040000
	s_or_b32 s33, s33, 0x40000                                 // 000000002BC4: 8721FF21 00040000
	s_or_b32 s13, s13, 0x40000                                 // 000000002BCC: 870DFF0D 00040000
	s_or_b32 s37, s37, 0x40000                                 // 000000002BD4: 8725FF25 00040000
	v_accvgpr_write_b32 a159, 0                                // 000000002BDC: D3D9409F 18000080
	v_mov_b32_e32 v187, 0                                      // 000000002BE4: 7F760280
	s_waitcnt lgkmcnt(0)                                       // 000000002BE8: BF8CC07F
	s_mul_i32 s60, s3, 0x70                                    // 000000002BEC: 923CFF03 00000070
	s_cmp_lt_i32 s60, s48                                      // 000000002BF4: BF04303C
	s_cbranch_scc0 label_35C6                                  // 000000002BF8: BF843544
	s_mov_b32 s80, 0                                           // 000000002BFC: BED00080
	s_lshr_b32 s81, s64, s88                                   // 000000002C00: 8F515840
	s_mul_i32 s60, s3, 4                                       // 000000002C04: 923C8403
	s_add_u32 s44, s60, s44                                    // 000000002C08: 802C2C3C
	s_addc_u32 s45, 0, s45                                     // 000000002C0C: 822D2D80
	s_load_dword s5, s[44:45], 0x0                             // 000000002C10: C0020156 00000000
	s_mul_i32 s60, s3, 0x70                                    // 000000002C18: 923CFF03 00000070
	s_mul_i32 s60, 4, s60                                      // 000000002C20: 923C3C84
	s_add_u32 s12, s60, s12                                    // 000000002C24: 800C0C3C
	s_addc_u32 s13, 0, s13                                     // 000000002C28: 820D0D80
	v_and_b32_e32 v4, 15, v0                                   // 000000002C2C: 2608008F
	v_lshlrev_b32_e32 v4, 2, v4                                // 000000002C30: 24080882
	buffer_load_dword v30, v4, s[12:15], 0 offen               // 000000002C34: E0501000 80031E04
	v_add_u32_e32 v4, 64, v4                                   // 000000002C3C: 680808C0
	buffer_load_dword v31, v4, s[12:15], 0 offen               // 000000002C40: E0501000 80031F04
	v_add_u32_e32 v4, 64, v4                                   // 000000002C48: 680808C0
	buffer_load_dword v32, v4, s[12:15], 0 offen               // 000000002C4C: E0501000 80032004
	v_add_u32_e32 v4, 64, v4                                   // 000000002C54: 680808C0
	buffer_load_dword v33, v4, s[12:15], 0 offen               // 000000002C58: E0501000 80032104
	v_add_u32_e32 v4, 64, v4                                   // 000000002C60: 680808C0
	buffer_load_dword v34, v4, s[12:15], 0 offen               // 000000002C64: E0501000 80032204
	v_add_u32_e32 v4, 64, v4                                   // 000000002C6C: 680808C0
	buffer_load_dword v35, v4, s[12:15], 0 offen               // 000000002C70: E0501000 80032304
	v_add_u32_e32 v4, 64, v4                                   // 000000002C78: 680808C0
	buffer_load_dword v36, v4, s[12:15], 0 offen               // 000000002C7C: E0501000 80032404
	v_add_u32_e32 v4, 64, v4                                   // 000000002C84: 680808C0
	s_mul_i32 s60, 4, s7                                       // 000000002C88: 923C0784
	v_lshlrev_b32_e32 v4, 4, v0                                // 000000002C8C: 24080084
	v_add_u32_e32 v4, s60, v4                                  // 000000002C90: 6808083C
	buffer_load_dword v3, v4, s[12:15], 0 offen                // 000000002C94: E0501000 80030304
	v_mov_b32_e32 v76, 0                                       // 000000002C9C: 7E980280
	v_mov_b32_e32 v132, 0                                      // 000000002CA0: 7F080280
	v_mov_b32_e32 v77, 0                                       // 000000002CA4: 7E9A0280
	v_mov_b32_e32 v133, 0                                      // 000000002CA8: 7F0A0280
	v_mov_b32_e32 v78, 0                                       // 000000002CAC: 7E9C0280
	v_mov_b32_e32 v134, 0                                      // 000000002CB0: 7F0C0280
	v_mov_b32_e32 v79, 0                                       // 000000002CB4: 7E9E0280
	v_mov_b32_e32 v135, 0                                      // 000000002CB8: 7F0E0280
	v_mov_b32_e32 v80, 0                                       // 000000002CBC: 7EA00280
	v_mov_b32_e32 v136, 0                                      // 000000002CC0: 7F100280
	v_mov_b32_e32 v81, 0                                       // 000000002CC4: 7EA20280
	v_mov_b32_e32 v137, 0                                      // 000000002CC8: 7F120280
	v_mov_b32_e32 v82, 0                                       // 000000002CCC: 7EA40280
	v_mov_b32_e32 v138, 0                                      // 000000002CD0: 7F140280
	v_mov_b32_e32 v83, 0                                       // 000000002CD4: 7EA60280
	v_mov_b32_e32 v139, 0                                      // 000000002CD8: 7F160280
	v_mov_b32_e32 v84, 0                                       // 000000002CDC: 7EA80280
	v_mov_b32_e32 v140, 0                                      // 000000002CE0: 7F180280
	v_mov_b32_e32 v85, 0                                       // 000000002CE4: 7EAA0280
	v_mov_b32_e32 v141, 0                                      // 000000002CE8: 7F1A0280
	v_mov_b32_e32 v86, 0                                       // 000000002CEC: 7EAC0280
	v_mov_b32_e32 v142, 0                                      // 000000002CF0: 7F1C0280
	v_mov_b32_e32 v87, 0                                       // 000000002CF4: 7EAE0280
	v_mov_b32_e32 v143, 0                                      // 000000002CF8: 7F1E0280
	v_mov_b32_e32 v88, 0                                       // 000000002CFC: 7EB00280
	v_mov_b32_e32 v144, 0                                      // 000000002D00: 7F200280
	v_mov_b32_e32 v89, 0                                       // 000000002D04: 7EB20280
	v_mov_b32_e32 v145, 0                                      // 000000002D08: 7F220280
	v_mov_b32_e32 v90, 0                                       // 000000002D0C: 7EB40280
	v_mov_b32_e32 v146, 0                                      // 000000002D10: 7F240280
	v_mov_b32_e32 v91, 0                                       // 000000002D14: 7EB60280
	v_mov_b32_e32 v147, 0                                      // 000000002D18: 7F260280
	v_mov_b32_e32 v92, 0                                       // 000000002D1C: 7EB80280
	v_mov_b32_e32 v148, 0                                      // 000000002D20: 7F280280
	v_mov_b32_e32 v93, 0                                       // 000000002D24: 7EBA0280
	v_mov_b32_e32 v149, 0                                      // 000000002D28: 7F2A0280
	v_mov_b32_e32 v94, 0                                       // 000000002D2C: 7EBC0280
	v_mov_b32_e32 v150, 0                                      // 000000002D30: 7F2C0280
	v_mov_b32_e32 v95, 0                                       // 000000002D34: 7EBE0280
	v_mov_b32_e32 v151, 0                                      // 000000002D38: 7F2E0280
	v_mov_b32_e32 v96, 0                                       // 000000002D3C: 7EC00280
	v_mov_b32_e32 v152, 0                                      // 000000002D40: 7F300280
	v_mov_b32_e32 v97, 0                                       // 000000002D44: 7EC20280
	v_mov_b32_e32 v153, 0                                      // 000000002D48: 7F320280
	v_mov_b32_e32 v98, 0                                       // 000000002D4C: 7EC40280
	v_mov_b32_e32 v154, 0                                      // 000000002D50: 7F340280
	v_mov_b32_e32 v99, 0                                       // 000000002D54: 7EC60280
	v_mov_b32_e32 v155, 0                                      // 000000002D58: 7F360280
	v_mov_b32_e32 v100, 0                                      // 000000002D5C: 7EC80280
	v_mov_b32_e32 v156, 0                                      // 000000002D60: 7F380280
	v_mov_b32_e32 v101, 0                                      // 000000002D64: 7ECA0280
	v_mov_b32_e32 v157, 0                                      // 000000002D68: 7F3A0280
	v_mov_b32_e32 v102, 0                                      // 000000002D6C: 7ECC0280
	v_mov_b32_e32 v158, 0                                      // 000000002D70: 7F3C0280
	v_mov_b32_e32 v103, 0                                      // 000000002D74: 7ECE0280
	v_mov_b32_e32 v159, 0                                      // 000000002D78: 7F3E0280
	v_mov_b32_e32 v104, 0                                      // 000000002D7C: 7ED00280
	v_mov_b32_e32 v160, 0                                      // 000000002D80: 7F400280
	v_mov_b32_e32 v105, 0                                      // 000000002D84: 7ED20280
	v_mov_b32_e32 v161, 0                                      // 000000002D88: 7F420280
	v_mov_b32_e32 v106, 0                                      // 000000002D8C: 7ED40280
	v_mov_b32_e32 v162, 0                                      // 000000002D90: 7F440280
	v_mov_b32_e32 v107, 0                                      // 000000002D94: 7ED60280
	v_mov_b32_e32 v163, 0                                      // 000000002D98: 7F460280
	v_mov_b32_e32 v108, 0                                      // 000000002D9C: 7ED80280
	v_mov_b32_e32 v164, 0                                      // 000000002DA0: 7F480280
	v_mov_b32_e32 v109, 0                                      // 000000002DA4: 7EDA0280
	v_mov_b32_e32 v165, 0                                      // 000000002DA8: 7F4A0280
	v_mov_b32_e32 v110, 0                                      // 000000002DAC: 7EDC0280
	v_mov_b32_e32 v166, 0                                      // 000000002DB0: 7F4C0280
	v_mov_b32_e32 v111, 0                                      // 000000002DB4: 7EDE0280
	v_mov_b32_e32 v167, 0                                      // 000000002DB8: 7F4E0280
	v_mov_b32_e32 v112, 0                                      // 000000002DBC: 7EE00280
	v_mov_b32_e32 v168, 0                                      // 000000002DC0: 7F500280
	v_mov_b32_e32 v113, 0                                      // 000000002DC4: 7EE20280
	v_mov_b32_e32 v169, 0                                      // 000000002DC8: 7F520280
	v_mov_b32_e32 v114, 0                                      // 000000002DCC: 7EE40280
	v_mov_b32_e32 v170, 0                                      // 000000002DD0: 7F540280
	v_mov_b32_e32 v115, 0                                      // 000000002DD4: 7EE60280
	v_mov_b32_e32 v171, 0                                      // 000000002DD8: 7F560280
	v_mov_b32_e32 v116, 0                                      // 000000002DDC: 7EE80280
	v_mov_b32_e32 v172, 0                                      // 000000002DE0: 7F580280
	v_mov_b32_e32 v117, 0                                      // 000000002DE4: 7EEA0280
	v_mov_b32_e32 v173, 0                                      // 000000002DE8: 7F5A0280
	v_mov_b32_e32 v118, 0                                      // 000000002DEC: 7EEC0280
	v_mov_b32_e32 v174, 0                                      // 000000002DF0: 7F5C0280
	v_mov_b32_e32 v119, 0                                      // 000000002DF4: 7EEE0280
	v_mov_b32_e32 v175, 0                                      // 000000002DF8: 7F5E0280
	v_mov_b32_e32 v120, 0                                      // 000000002DFC: 7EF00280
	v_mov_b32_e32 v176, 0                                      // 000000002E00: 7F600280
	v_mov_b32_e32 v121, 0                                      // 000000002E04: 7EF20280
	v_mov_b32_e32 v177, 0                                      // 000000002E08: 7F620280
	v_mov_b32_e32 v122, 0                                      // 000000002E0C: 7EF40280
	v_mov_b32_e32 v178, 0                                      // 000000002E10: 7F640280
	v_mov_b32_e32 v123, 0                                      // 000000002E14: 7EF60280
	v_mov_b32_e32 v179, 0                                      // 000000002E18: 7F660280
	v_mov_b32_e32 v124, 0                                      // 000000002E1C: 7EF80280
	v_mov_b32_e32 v180, 0                                      // 000000002E20: 7F680280
	v_mov_b32_e32 v125, 0                                      // 000000002E24: 7EFA0280
	v_mov_b32_e32 v181, 0                                      // 000000002E28: 7F6A0280
	v_mov_b32_e32 v126, 0                                      // 000000002E2C: 7EFC0280
	v_mov_b32_e32 v182, 0                                      // 000000002E30: 7F6C0280
	v_mov_b32_e32 v127, 0                                      // 000000002E34: 7EFE0280
	v_mov_b32_e32 v183, 0                                      // 000000002E38: 7F6E0280
	v_mov_b32_e32 v128, 0                                      // 000000002E3C: 7F000280
	v_mov_b32_e32 v184, 0                                      // 000000002E40: 7F700280
	v_mov_b32_e32 v129, 0                                      // 000000002E44: 7F020280
	v_mov_b32_e32 v185, 0                                      // 000000002E48: 7F720280
	v_mov_b32_e32 v130, 0                                      // 000000002E4C: 7F040280
	v_mov_b32_e32 v186, 0                                      // 000000002E50: 7F740280
	v_mov_b32_e32 v131, 0                                      // 000000002E54: 7F060280
	v_mov_b32_e32 v187, 0                                      // 000000002E58: 7F760280
	s_mul_i32 s60, s2, 0x100                                   // 000000002E5C: 923CFF02 00000100
	s_cmp_eq_u32 s88, 0                                        // 000000002E64: BF068058
	s_cselect_b32 s61, 1, 2                                    // 000000002E68: 853D8281
	s_mul_i32 s60, s60, s61                                    // 000000002E6C: 923C3D3C
	s_mov_b32 s90, s8                                          // 000000002E70: BEDA0008
	s_mov_b32 s91, s9                                          // 000000002E74: BEDB0009
	s_add_u32 s8, s60, s8                                      // 000000002E78: 8008083C
	s_addc_u32 s9, 0, s9                                       // 000000002E7C: 82090980
	v_lshrrev_b32_e32 v4, 4, v0                                // 000000002E80: 20080084
	v_mul_lo_u32 v20, 34, v4                                   // 000000002E84: D2850014 000208A2
	v_and_b32_e32 v4, 15, v0                                   // 000000002E8C: 2608008F
	v_mul_lo_u32 v5, 2, v4                                     // 000000002E90: D2850005 00020882
	v_add_u32_e32 v20, v5, v20                                 // 000000002E98: 68282905
	s_mul_i32 s60, s7, 0x88                                    // 000000002E9C: 923CFF07 00000088
	v_add_u32_e32 v20, s60, v20                                // 000000002EA4: 6828283C
	v_lshlrev_b32_e32 v20, 2, v20                              // 000000002EA8: 24282882
	v_and_b32_e32 v4, 31, v0                                   // 000000002EAC: 2608009F
	v_lshrrev_b32_e32 v4, 1, v4                                // 000000002EB0: 20080881
	v_mul_lo_u32 v21, 34, v4                                   // 000000002EB4: D2850015 000208A2
	v_lshrrev_b32_e32 v4, 5, v0                                // 000000002EBC: 20080085
	v_mul_lo_u32 v4, 8, v4                                     // 000000002EC0: D2850004 00020888
	v_add_u32_e32 v21, v21, v4                                 // 000000002EC8: 682A0915
	v_and_b32_e32 v5, 1, v0                                    // 000000002ECC: 260A0081
	v_add_u32_e32 v21, v5, v21                                 // 000000002ED0: 682A2B05
	s_mul_i32 s60, s7, 2                                       // 000000002ED4: 923C8207
	v_add_u32_e32 v21, s60, v21                                // 000000002ED8: 682A2A3C
	v_lshlrev_b32_e32 v21, 2, v21                              // 000000002EDC: 242A2A82
	s_mul_i32 s60, s7, 0xe20                                   // 000000002EE0: 923CFF07 00000E20
	s_add_u32 s48, 0, s60                                      // 000000002EE8: 80303C80
	s_add_u32 s49, 0x3880, s48                                 // 000000002EEC: 803130FF 00003880
	s_add_u32 s50, 0x3880, s49                                 // 000000002EF4: 803231FF 00003880
	v_lshrrev_b32_e32 v4, 4, v0                                // 000000002EFC: 20080084
	v_lshlrev_b32_e32 v5, 2, v4                                // 000000002F00: 240A0882
	v_and_b32_e32 v4, 15, v0                                   // 000000002F04: 2608008F
	v_lshrrev_b32_e32 v6, 2, v4                                // 000000002F08: 200C0882
	v_lshlrev_b32_e32 v6, 5, v6                                // 000000002F0C: 240C0C85
	v_add_u32_e32 v5, v6, v5                                   // 000000002F10: 680A0B06
	v_and_b32_e32 v4, 3, v0                                    // 000000002F14: 26080083
	v_mul_u32_u24_e32 v6, 0x388, v4                            // 000000002F18: 100C08FF 00000388
	v_add_u32_e32 v5, v6, v5                                   // 000000002F20: 680A0B06
	v_lshlrev_b32_e32 v2, 2, v5                                // 000000002F24: 24040A82
	s_waitcnt lgkmcnt(0)                                       // 000000002F28: BF8CC07F
	s_mul_i32 s60, s2, 0x80                                    // 000000002F2C: 923CFF02 00000080
	s_mul_i32 s60, s60, s69                                    // 000000002F34: 923C453C
	s_mul_i32 s61, s5, s72                                     // 000000002F38: 923D4805
	s_add_u32 s60, s61, s60                                    // 000000002F3C: 803C3C3D
	s_add_u32 s24, s60, s24                                    // 000000002F40: 8018183C
	s_addc_u32 s25, 0, s25                                     // 000000002F44: 82191980
	s_lshr_b32 s60, s64, s88                                   // 000000002F48: 8F3C5840
	s_mul_i32 s60, s4, s60                                     // 000000002F4C: 923C3C04
	s_lshr_b32 s60, s60, 7                                     // 000000002F50: 8F3C873C
	s_mul_i32 s60, s60, 0x800                                  // 000000002F54: 923CFF3C 00000800
	s_add_u32 s24, s60, s24                                    // 000000002F5C: 8018183C
	s_addc_u32 s25, 0, s25                                     // 000000002F60: 82191980
	s_lshr_b32 s60, s69, s88                                   // 000000002F64: 8F3C5845
	s_mul_i32 s60, s4, s60                                     // 000000002F68: 923C3C04
	s_add_u32 s20, s60, s20                                    // 000000002F6C: 8014143C
	s_addc_u32 s21, 0, s21                                     // 000000002F70: 82151580
	s_mul_i32 s60, s7, 16                                      // 000000002F74: 923C9007
	s_mul_i32 s60, s60, s69                                    // 000000002F78: 923C453C
	v_lshlrev_b32_e32 v72, 4, v0                               // 000000002F7C: 24900084
	v_add_u32_e32 v72, s60, v72                                // 000000002F80: 6890903C
	s_mul_i32 s60, 64, s69                                     // 000000002F84: 923C45C0
	v_add_u32_e32 v73, s60, v72                                // 000000002F88: 6892903C
	s_mov_b32 s84, s24                                         // 000000002F8C: BED40018
	s_mov_b32 s85, s25                                         // 000000002F90: BED50019
	s_mov_b32 s86, s26                                         // 000000002F94: BED6001A
	s_mov_b32 s87, s27                                         // 000000002F98: BED7001B
	s_mul_i32 s60, s69, s65                                    // 000000002F9C: 923C4145
	s_add_u32 s84, s60, s84                                    // 000000002FA0: 8054543C
	s_addc_u32 s85, 0, s85                                     // 000000002FA4: 82555580
	v_lshrrev_b32_e32 v4, 4, v0                                // 000000002FA8: 20080084
	v_lshlrev_b32_e32 v5, 2, v4                                // 000000002FAC: 240A0882
	v_and_b32_e32 v4, 15, v0                                   // 000000002FB0: 2608008F
	v_lshrrev_b32_e32 v6, 2, v4                                // 000000002FB4: 200C0882
	v_lshlrev_b32_e32 v6, 6, v6                                // 000000002FB8: 240C0C86
	v_add_u32_e32 v5, v6, v5                                   // 000000002FBC: 680A0B06
	v_and_b32_e32 v4, 3, v0                                    // 000000002FC0: 26080083
	v_add_u32_e32 v5, v4, v5                                   // 000000002FC4: 680A0B04
	v_lshlrev_b32_e32 v22, 2, v5                               // 000000002FC8: 242C0A82
	s_mul_i32 s60, s7, 16                                      // 000000002FCC: 923C9007
	s_mul_i32 s60, s60, 4                                      // 000000002FD0: 923C843C
	v_add_u32_e32 v22, s60, v22                                // 000000002FD4: 682C2C3C
	s_mul_i32 s60, s2, 0x80                                    // 000000002FD8: 923CFF02 00000080
	s_mul_i32 s60, s60, 4                                      // 000000002FE0: 923C843C
	s_mul_i32 s61, s5, s74                                     // 000000002FE4: 923D4A05
	s_add_u32 s61, s61, s60                                    // 000000002FE8: 803D3C3D
	s_add_u32 s32, s61, s32                                    // 000000002FEC: 8020203D
	s_addc_u32 s33, 0, s33                                     // 000000002FF0: 82212180
	s_mov_b32 s57, 0x80                                        // 000000002FF4: BEB900FF 00000080
	s_mov_b32 s58, 0x800                                       // 000000002FFC: BEBA00FF 00000800
	s_mov_b32 s83, s58                                         // 000000003004: BED3003A
	s_mov_b32 s52, 0x7060302                                   // 000000003008: BEB400FF 07060302
	s_mov_b32 s53, 0x400                                       // 000000003010: BEB500FF 00000400
	s_mov_b32 s54, 0x40100                                     // 000000003018: BEB600FF 00040100
	s_mov_b32 s55, 0x4020100                                   // 000000003020: BEB700FF 04020100
	s_mov_b32 s6, 0x3fb8aa3b                                   // 000000003028: BE8600FF 3FB8AA3B
	s_mov_b32 s78, 0xbd92220c                                  // 000000003030: BECE00FF BD92220C
	s_mov_b32 s79, 0xbd92220c                                  // 000000003038: BECF00FF BD92220C
	s_mov_b32 m0, s48                                          // 000000003040: BEFC0030
	v_mov_b32_e32 v1, 0xbfcc4231                               // 000000003044: 7E0202FF BFCC4231
	v_mov_b32_e32 v17, 0xffff0000                              // 00000000304C: 7E2202FF FFFF0000
	v_mov_b32_e32 v18, 0x7fff0000                              // 000000003054: 7E2402FF 7FFF0000
	v_mov_b32_e32 v19, 0x7fff                                  // 00000000305C: 7E2602FF 00007FFF
	s_waitcnt vmcnt(0) expcnt(0) lgkmcnt(0)                    // 000000003064: BF8C0000
	v_lshrrev_b32_e32 v4, 5, v0                                // 000000003068: 20080085
	v_xor_b32_e32 v5, 1, v4                                    // 00000000306C: 2A0A0881
	v_readlane_b32 s82, v3, 0                                  // 000000003070: D2890052 00010103
	s_and_b32 s82, s82, 0xffffff                               // 000000003078: 8652FF52 00FFFFFF
	v_mul_lo_u32 v6, v5, s82                                   // 000000003080: D2850006 0000A505
	v_readlane_b32 s82, v3, 1                                  // 000000003088: D2890052 00010303
	s_and_b32 s82, s82, 0xffffff                               // 000000003090: 8652FF52 00FFFFFF
	v_mul_lo_u32 v7, v4, s82                                   // 000000003098: D2850007 0000A504
	v_add_u32_e32 v58, v6, v7                                  // 0000000030A0: 68740F06
	v_mul_lo_u32 v58, v58, s68                                 // 0000000030A4: D285003A 0000893A
	v_readlane_b32 s82, v3, 2                                  // 0000000030AC: D2890052 00010503
	s_and_b32 s82, s82, 0xffffff                               // 0000000030B4: 8652FF52 00FFFFFF
	v_mul_lo_u32 v6, v5, s82                                   // 0000000030BC: D2850006 0000A505
	v_readlane_b32 s82, v3, 3                                  // 0000000030C4: D2890052 00010703
	s_and_b32 s82, s82, 0xffffff                               // 0000000030CC: 8652FF52 00FFFFFF
	v_mul_lo_u32 v7, v4, s82                                   // 0000000030D4: D2850007 0000A504
	v_add_u32_e32 v59, v6, v7                                  // 0000000030DC: 68760F06
	v_mul_lo_u32 v59, v59, s68                                 // 0000000030E0: D285003B 0000893B
	v_readlane_b32 s82, v3, 4                                  // 0000000030E8: D2890052 00010903
	s_and_b32 s82, s82, 0xffffff                               // 0000000030F0: 8652FF52 00FFFFFF
	v_mul_lo_u32 v6, v5, s82                                   // 0000000030F8: D2850006 0000A505
	v_readlane_b32 s82, v3, 5                                  // 000000003100: D2890052 00010B03
	s_and_b32 s82, s82, 0xffffff                               // 000000003108: 8652FF52 00FFFFFF
	v_mul_lo_u32 v7, v4, s82                                   // 000000003110: D2850007 0000A504
	v_add_u32_e32 v60, v6, v7                                  // 000000003118: 68780F06
	v_mul_lo_u32 v60, v60, s68                                 // 00000000311C: D285003C 0000893C
	v_readlane_b32 s82, v3, 6                                  // 000000003124: D2890052 00010D03
	s_and_b32 s82, s82, 0xffffff                               // 00000000312C: 8652FF52 00FFFFFF
	v_mul_lo_u32 v6, v5, s82                                   // 000000003134: D2850006 0000A505
	v_readlane_b32 s82, v3, 7                                  // 00000000313C: D2890052 00010F03
	s_and_b32 s82, s82, 0xffffff                               // 000000003144: 8652FF52 00FFFFFF
	v_mul_lo_u32 v7, v4, s82                                   // 00000000314C: D2850007 0000A504
	v_add_u32_e32 v61, v6, v7                                  // 000000003154: 687A0F06
	v_mul_lo_u32 v61, v61, s68                                 // 000000003158: D285003D 0000893D
	v_readlane_b32 s82, v3, 8                                  // 000000003160: D2890052 00011103
	s_and_b32 s82, s82, 0xffffff                               // 000000003168: 8652FF52 00FFFFFF
	v_mul_lo_u32 v6, v5, s82                                   // 000000003170: D2850006 0000A505
	v_readlane_b32 s82, v3, 9                                  // 000000003178: D2890052 00011303
	s_and_b32 s82, s82, 0xffffff                               // 000000003180: 8652FF52 00FFFFFF
	v_mul_lo_u32 v7, v4, s82                                   // 000000003188: D2850007 0000A504
	v_add_u32_e32 v62, v6, v7                                  // 000000003190: 687C0F06
	v_mul_lo_u32 v62, v62, s68                                 // 000000003194: D285003E 0000893E
	v_readlane_b32 s82, v3, 10                                 // 00000000319C: D2890052 00011503
	s_and_b32 s82, s82, 0xffffff                               // 0000000031A4: 8652FF52 00FFFFFF
	v_mul_lo_u32 v6, v5, s82                                   // 0000000031AC: D2850006 0000A505
	v_readlane_b32 s82, v3, 11                                 // 0000000031B4: D2890052 00011703
	s_and_b32 s82, s82, 0xffffff                               // 0000000031BC: 8652FF52 00FFFFFF
	v_mul_lo_u32 v7, v4, s82                                   // 0000000031C4: D2850007 0000A504
	v_add_u32_e32 v63, v6, v7                                  // 0000000031CC: 687E0F06
	v_mul_lo_u32 v63, v63, s68                                 // 0000000031D0: D285003F 0000893F
	v_readlane_b32 s82, v3, 12                                 // 0000000031D8: D2890052 00011903
	s_and_b32 s82, s82, 0xffffff                               // 0000000031E0: 8652FF52 00FFFFFF
	v_mul_lo_u32 v6, v5, s82                                   // 0000000031E8: D2850006 0000A505
	v_readlane_b32 s82, v3, 13                                 // 0000000031F0: D2890052 00011B03
	s_and_b32 s82, s82, 0xffffff                               // 0000000031F8: 8652FF52 00FFFFFF
	v_mul_lo_u32 v7, v4, s82                                   // 000000003200: D2850007 0000A504
	v_add_u32_e32 v64, v6, v7                                  // 000000003208: 68800F06
	v_mul_lo_u32 v64, v64, s68                                 // 00000000320C: D2850040 00008940
	v_readlane_b32 s82, v3, 14                                 // 000000003214: D2890052 00011D03
	s_and_b32 s82, s82, 0xffffff                               // 00000000321C: 8652FF52 00FFFFFF
	v_mul_lo_u32 v6, v5, s82                                   // 000000003224: D2850006 0000A505
	v_readlane_b32 s82, v3, 15                                 // 00000000322C: D2890052 00011F03
	s_and_b32 s82, s82, 0xffffff                               // 000000003234: 8652FF52 00FFFFFF
	v_mul_lo_u32 v7, v4, s82                                   // 00000000323C: D2850007 0000A504
	v_add_u32_e32 v65, v6, v7                                  // 000000003244: 68820F06
	v_mul_lo_u32 v65, v65, s68                                 // 000000003248: D2850041 00008941
	v_readlane_b32 s82, v3, 16                                 // 000000003250: D2890052 00012103
	s_and_b32 s82, s82, 0xffffff                               // 000000003258: 8652FF52 00FFFFFF
	v_mul_lo_u32 v6, v5, s82                                   // 000000003260: D2850006 0000A505
	v_readlane_b32 s82, v3, 17                                 // 000000003268: D2890052 00012303
	s_and_b32 s82, s82, 0xffffff                               // 000000003270: 8652FF52 00FFFFFF
	v_mul_lo_u32 v7, v4, s82                                   // 000000003278: D2850007 0000A504
	v_add_u32_e32 v66, v6, v7                                  // 000000003280: 68840F06
	v_mul_lo_u32 v66, v66, s68                                 // 000000003284: D2850042 00008942
	v_readlane_b32 s82, v3, 18                                 // 00000000328C: D2890052 00012503
	s_and_b32 s82, s82, 0xffffff                               // 000000003294: 8652FF52 00FFFFFF
	v_mul_lo_u32 v6, v5, s82                                   // 00000000329C: D2850006 0000A505
	v_readlane_b32 s82, v3, 19                                 // 0000000032A4: D2890052 00012703
	s_and_b32 s82, s82, 0xffffff                               // 0000000032AC: 8652FF52 00FFFFFF
	v_mul_lo_u32 v7, v4, s82                                   // 0000000032B4: D2850007 0000A504
	v_add_u32_e32 v67, v6, v7                                  // 0000000032BC: 68860F06
	v_mul_lo_u32 v67, v67, s68                                 // 0000000032C0: D2850043 00008943
	v_readlane_b32 s82, v3, 20                                 // 0000000032C8: D2890052 00012903
	s_and_b32 s82, s82, 0xffffff                               // 0000000032D0: 8652FF52 00FFFFFF
	v_mul_lo_u32 v6, v5, s82                                   // 0000000032D8: D2850006 0000A505
	v_readlane_b32 s82, v3, 21                                 // 0000000032E0: D2890052 00012B03
	s_and_b32 s82, s82, 0xffffff                               // 0000000032E8: 8652FF52 00FFFFFF
	v_mul_lo_u32 v7, v4, s82                                   // 0000000032F0: D2850007 0000A504
	v_add_u32_e32 v68, v6, v7                                  // 0000000032F8: 68880F06
	v_mul_lo_u32 v68, v68, s68                                 // 0000000032FC: D2850044 00008944
	v_readlane_b32 s82, v3, 22                                 // 000000003304: D2890052 00012D03
	s_and_b32 s82, s82, 0xffffff                               // 00000000330C: 8652FF52 00FFFFFF
	v_mul_lo_u32 v6, v5, s82                                   // 000000003314: D2850006 0000A505
	v_readlane_b32 s82, v3, 23                                 // 00000000331C: D2890052 00012F03
	s_and_b32 s82, s82, 0xffffff                               // 000000003324: 8652FF52 00FFFFFF
	v_mul_lo_u32 v7, v4, s82                                   // 00000000332C: D2850007 0000A504
	v_add_u32_e32 v69, v6, v7                                  // 000000003334: 688A0F06
	v_mul_lo_u32 v69, v69, s68                                 // 000000003338: D2850045 00008945
	v_readlane_b32 s82, v3, 24                                 // 000000003340: D2890052 00013103
	s_and_b32 s82, s82, 0xffffff                               // 000000003348: 8652FF52 00FFFFFF
	v_mul_lo_u32 v6, v5, s82                                   // 000000003350: D2850006 0000A505
	v_readlane_b32 s82, v3, 25                                 // 000000003358: D2890052 00013303
	s_and_b32 s82, s82, 0xffffff                               // 000000003360: 8652FF52 00FFFFFF
	v_mul_lo_u32 v7, v4, s82                                   // 000000003368: D2850007 0000A504
	v_add_u32_e32 v70, v6, v7                                  // 000000003370: 688C0F06
	v_mul_lo_u32 v70, v70, s68                                 // 000000003374: D2850046 00008946
	v_readlane_b32 s82, v3, 26                                 // 00000000337C: D2890052 00013503
	s_and_b32 s82, s82, 0xffffff                               // 000000003384: 8652FF52 00FFFFFF
	v_mul_lo_u32 v6, v5, s82                                   // 00000000338C: D2850006 0000A505
	v_readlane_b32 s82, v3, 27                                 // 000000003394: D2890052 00013703
	s_and_b32 s82, s82, 0xffffff                               // 00000000339C: 8652FF52 00FFFFFF
	v_mul_lo_u32 v7, v4, s82                                   // 0000000033A4: D2850007 0000A504
	v_add_u32_e32 v71, v6, v7                                  // 0000000033AC: 688E0F06
	v_mul_lo_u32 v71, v71, s68                                 // 0000000033B0: D2850047 00008947
	v_and_b32_e32 v4, 31, v0                                   // 0000000033B8: 2608009F
	v_lshlrev_b32_e32 v4, 2, v4                                // 0000000033BC: 24080882
	v_add_u32_e32 v58, v58, v4                                 // 0000000033C0: 6874093A
	v_add_u32_e32 v59, v59, v4                                 // 0000000033C4: 6876093B
	v_add_u32_e32 v60, v60, v4                                 // 0000000033C8: 6878093C
	v_add_u32_e32 v61, v61, v4                                 // 0000000033CC: 687A093D
	v_add_u32_e32 v62, v62, v4                                 // 0000000033D0: 687C093E
	v_add_u32_e32 v63, v63, v4                                 // 0000000033D4: 687E093F
	v_add_u32_e32 v64, v64, v4                                 // 0000000033D8: 68800940
	v_add_u32_e32 v65, v65, v4                                 // 0000000033DC: 68820941
	v_add_u32_e32 v66, v66, v4                                 // 0000000033E0: 68840942
	v_add_u32_e32 v67, v67, v4                                 // 0000000033E4: 68860943
	v_add_u32_e32 v68, v68, v4                                 // 0000000033E8: 68880944
	v_add_u32_e32 v69, v69, v4                                 // 0000000033EC: 688A0945
	v_add_u32_e32 v70, v70, v4                                 // 0000000033F0: 688C0946
	v_add_u32_e32 v71, v71, v4                                 // 0000000033F4: 688E0947
	v_and_b32_e32 v30, 0xffffff, v30                           // 0000000033F8: 263C3CFF 00FFFFFF
	v_lshlrev_b32_e32 v30, 2, v30                              // 000000003400: 243C3C82
	v_and_b32_e32 v31, 0xffffff, v31                           // 000000003404: 263E3EFF 00FFFFFF
	v_lshlrev_b32_e32 v31, 2, v31                              // 00000000340C: 243E3E82
	v_and_b32_e32 v32, 0xffffff, v32                           // 000000003410: 264040FF 00FFFFFF
	v_lshlrev_b32_e32 v32, 2, v32                              // 000000003418: 24404082
	v_and_b32_e32 v33, 0xffffff, v33                           // 00000000341C: 264242FF 00FFFFFF
	v_lshlrev_b32_e32 v33, 2, v33                              // 000000003424: 24424282
	v_and_b32_e32 v34, 0xffffff, v34                           // 000000003428: 264444FF 00FFFFFF
	v_lshlrev_b32_e32 v34, 2, v34                              // 000000003430: 24444482
	v_and_b32_e32 v35, 0xffffff, v35                           // 000000003434: 264646FF 00FFFFFF
	v_lshlrev_b32_e32 v35, 2, v35                              // 00000000343C: 24464682
	v_and_b32_e32 v36, 0xffffff, v36                           // 000000003440: 264848FF 00FFFFFF
	v_lshlrev_b32_e32 v36, 2, v36                              // 000000003448: 24484882
	s_lshl_b32 s3, s66, 2                                      // 00000000344C: 8E038242
	buffer_load_dword v37, v30, s[28:31], 0 offen              // 000000003450: E0501000 8007251E
	buffer_load_dword v38, v31, s[28:31], 0 offen              // 000000003458: E0501000 8007261F
	buffer_load_dword v39, v32, s[28:31], 0 offen              // 000000003460: E0501000 80072720
	buffer_load_dword v40, v33, s[28:31], 0 offen              // 000000003468: E0501000 80072821
	;; [unrolled: 1-line block ×3, first 2 shown]
	buffer_load_dword v42, v35, s[28:31], 0 offen              // 000000003478: E0501000 80072A23
	buffer_load_dword v43, v36, s[28:31], 0 offen              // 000000003480: E0501000 80072B24
	buffer_load_dword v24, v22, s[32:35], 0 offen              // 000000003488: E0501000 80081816
	s_mul_i32 s60, 4, s65                                      // 000000003490: 923C4184
	s_add_u32 s32, s60, s32                                    // 000000003494: 8020203C
	s_addc_u32 s33, 0, s33                                     // 000000003498: 82212180
	buffer_load_dword v27, v22, s[32:35], 0 offen              // 00000000349C: E0501000 80081B16
	buffer_load_dword v58, s[20:23], 0 offen lds               // 0000000034A4: E0511000 8005003A
	s_add_u32 m0, 0x100, s48                                   // 0000000034AC: 807C30FF 00000100
	buffer_load_dword v59, s[20:23], 0 offen lds               // 0000000034B4: E0511000 8005003B
	s_add_u32 m0, 0x200, s48                                   // 0000000034BC: 807C30FF 00000200
	buffer_load_dword v60, s[20:23], 0 offen lds               // 0000000034C4: E0511000 8005003C
	s_add_u32 m0, 0x300, s48                                   // 0000000034CC: 807C30FF 00000300
	buffer_load_dword v61, s[20:23], 0 offen lds               // 0000000034D4: E0511000 8005003D
	s_add_u32 m0, 0x400, s48                                   // 0000000034DC: 807C30FF 00000400
	buffer_load_dword v62, s[20:23], 0 offen lds               // 0000000034E4: E0511000 8005003E
	s_add_u32 m0, 0x500, s48                                   // 0000000034EC: 807C30FF 00000500
	buffer_load_dword v63, s[20:23], 0 offen lds               // 0000000034F4: E0511000 8005003F
	s_add_u32 m0, 0x600, s48                                   // 0000000034FC: 807C30FF 00000600
	buffer_load_dword v64, s[20:23], 0 offen lds               // 000000003504: E0511000 80050040
	s_add_u32 m0, 0x700, s48                                   // 00000000350C: 807C30FF 00000700
	buffer_load_dword v65, s[20:23], 0 offen lds               // 000000003514: E0511000 80050041
	s_add_u32 m0, 0x800, s48                                   // 00000000351C: 807C30FF 00000800
	buffer_load_dword v66, s[20:23], 0 offen lds               // 000000003524: E0511000 80050042
	s_add_u32 m0, 0x900, s48                                   // 00000000352C: 807C30FF 00000900
	buffer_load_dword v67, s[20:23], 0 offen lds               // 000000003534: E0511000 80050043
	s_add_u32 m0, 0xa00, s48                                   // 00000000353C: 807C30FF 00000A00
	buffer_load_dword v68, s[20:23], 0 offen lds               // 000000003544: E0511000 80050044
	s_add_u32 m0, 0xb00, s48                                   // 00000000354C: 807C30FF 00000B00
	buffer_load_dword v69, s[20:23], 0 offen lds               // 000000003554: E0511000 80050045
	s_add_u32 m0, 0xc00, s48                                   // 00000000355C: 807C30FF 00000C00
	buffer_load_dword v70, s[20:23], 0 offen lds               // 000000003564: E0511000 80050046
	s_add_u32 m0, 0xd00, s48                                   // 00000000356C: 807C30FF 00000D00
	buffer_load_dword v71, s[20:23], 0 offen lds               // 000000003574: E0511000 80050047
	s_add_u32 m0, 0, s49                                       // 00000000357C: 807C3180
	s_add_u32 s20, s57, s20                                    // 000000003580: 80141439
	s_addc_u32 s21, 0, s21                                     // 000000003584: 82151580
	buffer_load_dwordx4 a[112:115], v72, s[24:27], 0 offen     // 000000003588: E05C1000 80867048
	buffer_load_dwordx4 a[116:119], v72, s[24:27], 0 offen offset:1024// 000000003590: E05C1400 80867448
	buffer_load_dwordx4 a[120:123], v73, s[24:27], 0 offen     // 000000003598: E05C1000 80867849
	buffer_load_dwordx4 a[124:127], v73, s[24:27], 0 offen offset:1024// 0000000035A0: E05C1400 80867C49
	s_add_u32 s24, s58, s24                                    // 0000000035A8: 8018183A
	s_addc_u32 s25, 0, s25                                     // 0000000035AC: 82191980
	buffer_load_dword v58, s[20:23], 0 offen lds               // 0000000035B0: E0511000 8005003A
	s_add_u32 m0, 0x100, s49                                   // 0000000035B8: 807C31FF 00000100
	buffer_load_dword v59, s[20:23], 0 offen lds               // 0000000035C0: E0511000 8005003B
	s_add_u32 m0, 0x200, s49                                   // 0000000035C8: 807C31FF 00000200
	buffer_load_dword v60, s[20:23], 0 offen lds               // 0000000035D0: E0511000 8005003C
	s_add_u32 m0, 0x300, s49                                   // 0000000035D8: 807C31FF 00000300
	buffer_load_dword v61, s[20:23], 0 offen lds               // 0000000035E0: E0511000 8005003D
	s_add_u32 m0, 0x400, s49                                   // 0000000035E8: 807C31FF 00000400
	buffer_load_dword v62, s[20:23], 0 offen lds               // 0000000035F0: E0511000 8005003E
	s_add_u32 m0, 0x500, s49                                   // 0000000035F8: 807C31FF 00000500
	buffer_load_dword v63, s[20:23], 0 offen lds               // 000000003600: E0511000 8005003F
	s_add_u32 m0, 0x600, s49                                   // 000000003608: 807C31FF 00000600
	buffer_load_dword v64, s[20:23], 0 offen lds               // 000000003610: E0511000 80050040
	s_add_u32 m0, 0x700, s49                                   // 000000003618: 807C31FF 00000700
	buffer_load_dword v65, s[20:23], 0 offen lds               // 000000003620: E0511000 80050041
	;; [unrolled: 2-line block ×4, first 2 shown]
	s_add_u32 m0, 0xa00, s49                                   // 000000003648: 807C31FF 00000A00
	buffer_load_dword v68, s[20:23], 0 offen lds               // 000000003650: E0511000 80050044
	s_add_u32 m0, 0xb00, s49                                   // 000000003658: 807C31FF 00000B00
	buffer_load_dword v69, s[20:23], 0 offen lds               // 000000003660: E0511000 80050045
	s_add_u32 m0, 0xc00, s49                                   // 000000003668: 807C31FF 00000C00
	buffer_load_dword v70, s[20:23], 0 offen lds               // 000000003670: E0511000 80050046
	s_add_u32 m0, 0xd00, s49                                   // 000000003678: 807C31FF 00000D00
	buffer_load_dword v71, s[20:23], 0 offen lds               // 000000003680: E0511000 80050047
	s_add_u32 m0, 0, s50                                       // 000000003688: 807C3280
	s_add_u32 s20, s57, s20                                    // 00000000368C: 80141439
	s_addc_u32 s21, 0, s21                                     // 000000003690: 82151580
	buffer_load_dwordx4 a[128:131], v72, s[84:87], 0 offen     // 000000003694: E05C1000 80958048
	buffer_load_dwordx4 a[132:135], v72, s[84:87], 0 offen offset:1024// 00000000369C: E05C1400 80958448
	buffer_load_dwordx4 a[136:139], v73, s[84:87], 0 offen     // 0000000036A4: E05C1000 80958849
	buffer_load_dwordx4 a[140:143], v73, s[84:87], 0 offen offset:1024// 0000000036AC: E05C1400 80958C49
	s_add_u32 s84, s83, s84                                    // 0000000036B4: 80545453
	s_addc_u32 s85, 0, s85                                     // 0000000036B8: 82555580
	s_waitcnt vmcnt(22)                                        // 0000000036BC: BF8C4F76
	s_barrier                                                  // 0000000036C0: BF8A0000
	ds_read_b128 a[0:3], v2                                    // 0000000036C4: DBFE0000 00000002
	ds_read_b128 a[4:7], v2 offset:64                          // 0000000036CC: DBFE0040 04000002
	ds_read_b128 a[8:11], v2 offset:512                        // 0000000036D4: DBFE0200 08000002
	ds_read_b128 a[12:15], v2 offset:576                       // 0000000036DC: DBFE0240 0C000002
	ds_read_b128 a[16:19], v2 offset:1024                      // 0000000036E4: DBFE0400 10000002
	ds_read_b128 a[20:23], v2 offset:1088                      // 0000000036EC: DBFE0440 14000002
	ds_read_b128 a[24:27], v2 offset:1536                      // 0000000036F4: DBFE0600 18000002
	ds_read_b128 a[28:31], v2 offset:1600                      // 0000000036FC: DBFE0640 1C000002
	ds_read_b128 a[32:35], v2 offset:2048                      // 000000003704: DBFE0800 20000002
	ds_read_b128 a[36:39], v2 offset:2112                      // 00000000370C: DBFE0840 24000002
	ds_read_b128 a[40:43], v2 offset:2560                      // 000000003714: DBFE0A00 28000002
	ds_read_b128 a[44:47], v2 offset:2624                      // 00000000371C: DBFE0A40 2C000002
	ds_read_b128 a[48:51], v2 offset:3072                      // 000000003724: DBFE0C00 30000002
	ds_read_b128 a[52:55], v2 offset:3136                      // 00000000372C: DBFE0C40 34000002
	s_cmp_lt_i32 s7, 2                                         // 000000003734: BF048207
	s_cbranch_scc0 label_1C8C                                  // 000000003738: BF84193A

000000000000373c <label_034F>:
	s_waitcnt vmcnt(18) lgkmcnt(0)                             // 00000000373C: BF8C4072
	v_mfma_i32_16x16x32_i8 v[76:79], a[112:113], a[0:1], v[76:79]// 000000003740: D3D7004C 1D320170
	v_mfma_i32_16x16x32_i8 v[76:79], a[114:115], a[2:3], v[76:79]// 000000003748: D3D7004C 1D320572
	buffer_load_dwordx4 a[144:147], v72, s[24:27], 0 offen     // 000000003750: E05C1000 80869048
	v_mfma_i32_16x16x32_i8 v[76:79], a[116:117], a[4:5], v[76:79]// 000000003758: D3D7004C 1D320974
	v_mfma_i32_16x16x32_i8 v[76:79], a[118:119], a[6:7], v[76:79]// 000000003760: D3D7004C 1D320D76
	v_mfma_i32_16x16x32_i8 v[104:107], a[120:121], a[0:1], v[104:107]// 000000003768: D3D70068 1DA20178
	v_mfma_i32_16x16x32_i8 v[104:107], a[122:123], a[2:3], v[104:107]// 000000003770: D3D70068 1DA2057A
	buffer_load_dwordx4 a[148:151], v72, s[24:27], 0 offen offset:1024// 000000003778: E05C1400 80869448
	v_mfma_i32_16x16x32_i8 v[104:107], a[124:125], a[4:5], v[104:107]// 000000003780: D3D70068 1DA2097C
	v_mfma_i32_16x16x32_i8 v[104:107], a[126:127], a[6:7], v[104:107]// 000000003788: D3D70068 1DA20D7E
	v_mfma_i32_16x16x32_i8 v[80:83], a[112:113], a[8:9], v[80:83]// 000000003790: D3D70050 1D421170
	v_mfma_i32_16x16x32_i8 v[80:83], a[114:115], a[10:11], v[80:83]// 000000003798: D3D70050 1D421572
	buffer_load_dwordx4 a[152:155], v73, s[24:27], 0 offen     // 0000000037A0: E05C1000 80869849
	v_mfma_i32_16x16x32_i8 v[80:83], a[116:117], a[12:13], v[80:83]// 0000000037A8: D3D70050 1D421974
	v_mfma_i32_16x16x32_i8 v[80:83], a[118:119], a[14:15], v[80:83]// 0000000037B0: D3D70050 1D421D76
	v_mfma_i32_16x16x32_i8 v[108:111], a[120:121], a[8:9], v[108:111]// 0000000037B8: D3D7006C 1DB21178
	v_mfma_i32_16x16x32_i8 v[108:111], a[122:123], a[10:11], v[108:111]// 0000000037C0: D3D7006C 1DB2157A
	buffer_load_dwordx4 a[156:159], v73, s[24:27], 0 offen offset:1024// 0000000037C8: E05C1400 80869C49
	buffer_load_dword v58, s[20:23], 0 offen lds               // 0000000037D0: E0511000 8005003A
	s_add_u32 m0, 0x100, s50                                   // 0000000037D8: 807C32FF 00000100
	v_mfma_i32_16x16x32_i8 v[108:111], a[124:125], a[12:13], v[108:111]// 0000000037E0: D3D7006C 1DB2197C
	v_mfma_i32_16x16x32_i8 v[108:111], a[126:127], a[14:15], v[108:111]// 0000000037E8: D3D7006C 1DB21D7E
	buffer_load_dword v59, s[20:23], 0 offen lds               // 0000000037F0: E0511000 8005003B
	s_add_u32 m0, 0x200, s50                                   // 0000000037F8: 807C32FF 00000200
	v_mfma_i32_16x16x32_i8 v[84:87], a[112:113], a[16:17], v[84:87]// 000000003800: D3D70054 1D522170
	v_mfma_i32_16x16x32_i8 v[84:87], a[114:115], a[18:19], v[84:87]// 000000003808: D3D70054 1D522572
	buffer_load_dword v60, s[20:23], 0 offen lds               // 000000003810: E0511000 8005003C
	s_add_u32 m0, 0x300, s50                                   // 000000003818: 807C32FF 00000300
	v_mfma_i32_16x16x32_i8 v[84:87], a[116:117], a[20:21], v[84:87]// 000000003820: D3D70054 1D522974
	v_mfma_i32_16x16x32_i8 v[84:87], a[118:119], a[22:23], v[84:87]// 000000003828: D3D70054 1D522D76
	buffer_load_dword v61, s[20:23], 0 offen lds               // 000000003830: E0511000 8005003D
	s_add_u32 m0, 0x400, s50                                   // 000000003838: 807C32FF 00000400
	v_mfma_i32_16x16x32_i8 v[112:115], a[120:121], a[16:17], v[112:115]// 000000003840: D3D70070 1DC22178
	v_mfma_i32_16x16x32_i8 v[112:115], a[122:123], a[18:19], v[112:115]// 000000003848: D3D70070 1DC2257A
	buffer_load_dword v62, s[20:23], 0 offen lds               // 000000003850: E0511000 8005003E
	s_add_u32 m0, 0x500, s50                                   // 000000003858: 807C32FF 00000500
	v_mfma_i32_16x16x32_i8 v[112:115], a[124:125], a[20:21], v[112:115]// 000000003860: D3D70070 1DC2297C
	v_mfma_i32_16x16x32_i8 v[112:115], a[126:127], a[22:23], v[112:115]// 000000003868: D3D70070 1DC22D7E
	buffer_load_dword v63, s[20:23], 0 offen lds               // 000000003870: E0511000 8005003F
	s_add_u32 m0, 0x600, s50                                   // 000000003878: 807C32FF 00000600
	v_mfma_i32_16x16x32_i8 v[88:91], a[112:113], a[24:25], v[88:91]// 000000003880: D3D70058 1D623170
	v_mfma_i32_16x16x32_i8 v[88:91], a[114:115], a[26:27], v[88:91]// 000000003888: D3D70058 1D623572
	buffer_load_dword v64, s[20:23], 0 offen lds               // 000000003890: E0511000 80050040
	s_add_u32 m0, 0x700, s50                                   // 000000003898: 807C32FF 00000700
	v_mfma_i32_16x16x32_i8 v[88:91], a[116:117], a[28:29], v[88:91]// 0000000038A0: D3D70058 1D623974
	v_mfma_i32_16x16x32_i8 v[88:91], a[118:119], a[30:31], v[88:91]// 0000000038A8: D3D70058 1D623D76
	buffer_load_dword v65, s[20:23], 0 offen lds               // 0000000038B0: E0511000 80050041
	s_add_u32 m0, 0x800, s50                                   // 0000000038B8: 807C32FF 00000800
	v_mfma_i32_16x16x32_i8 v[116:119], a[120:121], a[24:25], v[116:119]// 0000000038C0: D3D70074 1DD23178
	v_mfma_i32_16x16x32_i8 v[116:119], a[122:123], a[26:27], v[116:119]// 0000000038C8: D3D70074 1DD2357A
	buffer_load_dword v66, s[20:23], 0 offen lds               // 0000000038D0: E0511000 80050042
	s_add_u32 m0, 0x900, s50                                   // 0000000038D8: 807C32FF 00000900
	v_mfma_i32_16x16x32_i8 v[116:119], a[124:125], a[28:29], v[116:119]// 0000000038E0: D3D70074 1DD2397C
	v_mfma_i32_16x16x32_i8 v[116:119], a[126:127], a[30:31], v[116:119]// 0000000038E8: D3D70074 1DD23D7E
	buffer_load_dword v67, s[20:23], 0 offen lds               // 0000000038F0: E0511000 80050043
	s_add_u32 m0, 0xa00, s50                                   // 0000000038F8: 807C32FF 00000A00
	v_mfma_i32_16x16x32_i8 v[92:95], a[112:113], a[32:33], v[92:95]// 000000003900: D3D7005C 1D724170
	v_mfma_i32_16x16x32_i8 v[92:95], a[114:115], a[34:35], v[92:95]// 000000003908: D3D7005C 1D724572
	buffer_load_dword v68, s[20:23], 0 offen lds               // 000000003910: E0511000 80050044
	s_add_u32 m0, 0xb00, s50                                   // 000000003918: 807C32FF 00000B00
	v_mfma_i32_16x16x32_i8 v[92:95], a[116:117], a[36:37], v[92:95]// 000000003920: D3D7005C 1D724974
	v_mfma_i32_16x16x32_i8 v[92:95], a[118:119], a[38:39], v[92:95]// 000000003928: D3D7005C 1D724D76
	buffer_load_dword v69, s[20:23], 0 offen lds               // 000000003930: E0511000 80050045
	s_add_u32 m0, 0xc00, s50                                   // 000000003938: 807C32FF 00000C00
	v_mfma_i32_16x16x32_i8 v[120:123], a[120:121], a[32:33], v[120:123]// 000000003940: D3D70078 1DE24178
	v_mfma_i32_16x16x32_i8 v[120:123], a[122:123], a[34:35], v[120:123]// 000000003948: D3D70078 1DE2457A
	buffer_load_dword v70, s[20:23], 0 offen lds               // 000000003950: E0511000 80050046
	s_add_u32 m0, 0xd00, s50                                   // 000000003958: 807C32FF 00000D00
	v_mfma_i32_16x16x32_i8 v[120:123], a[124:125], a[36:37], v[120:123]// 000000003960: D3D70078 1DE2497C
	v_mfma_i32_16x16x32_i8 v[120:123], a[126:127], a[38:39], v[120:123]// 000000003968: D3D70078 1DE24D7E
	buffer_load_dword v71, s[20:23], 0 offen lds               // 000000003970: E0511000 80050047
	s_add_u32 m0, 0, s48                                       // 000000003978: 807C3080
	v_mfma_i32_16x16x32_i8 v[96:99], a[112:113], a[40:41], v[96:99]// 00000000397C: D3D70060 1D825170
	v_mfma_i32_16x16x32_i8 v[96:99], a[114:115], a[42:43], v[96:99]// 000000003984: D3D70060 1D825572
	v_mfma_i32_16x16x32_i8 v[96:99], a[116:117], a[44:45], v[96:99]// 00000000398C: D3D70060 1D825974
	v_mfma_i32_16x16x32_i8 v[96:99], a[118:119], a[46:47], v[96:99]// 000000003994: D3D70060 1D825D76
	v_mfma_i32_16x16x32_i8 v[124:127], a[120:121], a[40:41], v[124:127]// 00000000399C: D3D7007C 1DF25178
	v_mfma_i32_16x16x32_i8 v[124:127], a[122:123], a[42:43], v[124:127]// 0000000039A4: D3D7007C 1DF2557A
	v_mfma_i32_16x16x32_i8 v[124:127], a[124:125], a[44:45], v[124:127]// 0000000039AC: D3D7007C 1DF2597C
	v_mfma_i32_16x16x32_i8 v[124:127], a[126:127], a[46:47], v[124:127]// 0000000039B4: D3D7007C 1DF25D7E
	v_mfma_i32_16x16x32_i8 v[100:103], a[112:113], a[48:49], v[100:103]// 0000000039BC: D3D70064 1D926170
	v_mfma_i32_16x16x32_i8 v[100:103], a[114:115], a[50:51], v[100:103]// 0000000039C4: D3D70064 1D926572
	v_mfma_i32_16x16x32_i8 v[100:103], a[116:117], a[52:53], v[100:103]// 0000000039CC: D3D70064 1D926974
	v_mfma_i32_16x16x32_i8 v[100:103], a[118:119], a[54:55], v[100:103]// 0000000039D4: D3D70064 1D926D76
	v_mfma_i32_16x16x32_i8 v[128:131], a[120:121], a[48:49], v[128:131]// 0000000039DC: D3D70080 1E026178
	v_mfma_i32_16x16x32_i8 v[128:131], a[122:123], a[50:51], v[128:131]// 0000000039E4: D3D70080 1E02657A
	v_mfma_i32_16x16x32_i8 v[128:131], a[124:125], a[52:53], v[128:131]// 0000000039EC: D3D70080 1E02697C
	v_mfma_i32_16x16x32_i8 v[128:131], a[126:127], a[54:55], v[128:131]// 0000000039F4: D3D70080 1E026D7E
	s_waitcnt vmcnt(18)                                        // 0000000039FC: BF8C4F72
	s_barrier                                                  // 000000003A00: BF8A0000
	v_mfma_i32_16x16x32_i8 v[132:135], a[128:129], a[0:1], v[132:135]// 000000003A04: D3D70084 1E120180
	v_mfma_i32_16x16x32_i8 v[132:135], a[130:131], a[2:3], v[132:135]// 000000003A0C: D3D70084 1E120582
	buffer_load_dwordx4 a[112:115], v72, s[84:87], 0 offen     // 000000003A14: E05C1000 80957048
	v_mfma_i32_16x16x32_i8 v[132:135], a[132:133], a[4:5], v[132:135]// 000000003A1C: D3D70084 1E120984
	v_mfma_i32_16x16x32_i8 v[132:135], a[134:135], a[6:7], v[132:135]// 000000003A24: D3D70084 1E120D86
	ds_read_b128 a[56:59], v2 offset:14464                     // 000000003A2C: DBFE3880 38000002
	ds_read_b128 a[60:63], v2 offset:14528                     // 000000003A34: DBFE38C0 3C000002
	v_mfma_i32_16x16x32_i8 v[160:163], a[136:137], a[0:1], v[160:163]// 000000003A3C: D3D700A0 1E820188
	v_mfma_i32_16x16x32_i8 v[160:163], a[138:139], a[2:3], v[160:163]// 000000003A44: D3D700A0 1E82058A
	buffer_load_dwordx4 a[116:119], v72, s[84:87], 0 offen offset:1024// 000000003A4C: E05C1400 80957448
	v_mfma_i32_16x16x32_i8 v[160:163], a[140:141], a[4:5], v[160:163]// 000000003A54: D3D700A0 1E82098C
	v_mfma_i32_16x16x32_i8 v[160:163], a[142:143], a[6:7], v[160:163]// 000000003A5C: D3D700A0 1E820D8E
	ds_read_b128 a[64:67], v2 offset:14976                     // 000000003A64: DBFE3A80 40000002
	ds_read_b128 a[68:71], v2 offset:15040                     // 000000003A6C: DBFE3AC0 44000002
	v_mfma_i32_16x16x32_i8 v[136:139], a[128:129], a[8:9], v[136:139]// 000000003A74: D3D70088 1E221180
	v_mfma_i32_16x16x32_i8 v[136:139], a[130:131], a[10:11], v[136:139]// 000000003A7C: D3D70088 1E221582
	buffer_load_dwordx4 a[120:123], v73, s[84:87], 0 offen     // 000000003A84: E05C1000 80957849
	v_mfma_i32_16x16x32_i8 v[136:139], a[132:133], a[12:13], v[136:139]// 000000003A8C: D3D70088 1E221984
	v_mfma_i32_16x16x32_i8 v[136:139], a[134:135], a[14:15], v[136:139]// 000000003A94: D3D70088 1E221D86
	ds_read_b128 a[72:75], v2 offset:15488                     // 000000003A9C: DBFE3C80 48000002
	ds_read_b128 a[76:79], v2 offset:15552                     // 000000003AA4: DBFE3CC0 4C000002
	v_mfma_i32_16x16x32_i8 v[164:167], a[136:137], a[8:9], v[164:167]// 000000003AAC: D3D700A4 1E921188
	v_mfma_i32_16x16x32_i8 v[164:167], a[138:139], a[10:11], v[164:167]// 000000003AB4: D3D700A4 1E92158A
	buffer_load_dwordx4 a[124:127], v73, s[84:87], 0 offen offset:1024// 000000003ABC: E05C1400 80957C49
	v_mfma_i32_16x16x32_i8 v[164:167], a[140:141], a[12:13], v[164:167]// 000000003AC4: D3D700A4 1E92198C
	v_mfma_i32_16x16x32_i8 v[164:167], a[142:143], a[14:15], v[164:167]// 000000003ACC: D3D700A4 1E921D8E
	ds_read_b128 a[80:83], v2 offset:16000                     // 000000003AD4: DBFE3E80 50000002
	ds_read_b128 a[84:87], v2 offset:16064                     // 000000003ADC: DBFE3EC0 54000002
	v_mfma_i32_16x16x32_i8 v[140:143], a[128:129], a[16:17], v[140:143]// 000000003AE4: D3D7008C 1E322180
	v_mfma_i32_16x16x32_i8 v[140:143], a[130:131], a[18:19], v[140:143]// 000000003AEC: D3D7008C 1E322582
	v_mfma_i32_16x16x32_i8 v[140:143], a[132:133], a[20:21], v[140:143]// 000000003AF4: D3D7008C 1E322984
	v_mfma_i32_16x16x32_i8 v[140:143], a[134:135], a[22:23], v[140:143]// 000000003AFC: D3D7008C 1E322D86
	ds_read_b128 a[88:91], v2 offset:16512                     // 000000003B04: DBFE4080 58000002
	ds_read_b128 a[92:95], v2 offset:16576                     // 000000003B0C: DBFE40C0 5C000002
	v_mfma_i32_16x16x32_i8 v[168:171], a[136:137], a[16:17], v[168:171]// 000000003B14: D3D700A8 1EA22188
	v_mfma_i32_16x16x32_i8 v[168:171], a[138:139], a[18:19], v[168:171]// 000000003B1C: D3D700A8 1EA2258A
	v_mfma_i32_16x16x32_i8 v[168:171], a[140:141], a[20:21], v[168:171]// 000000003B24: D3D700A8 1EA2298C
	v_mfma_i32_16x16x32_i8 v[168:171], a[142:143], a[22:23], v[168:171]// 000000003B2C: D3D700A8 1EA22D8E
	ds_read_b128 a[96:99], v2 offset:17024                     // 000000003B34: DBFE4280 60000002
	ds_read_b128 a[100:103], v2 offset:17088                   // 000000003B3C: DBFE42C0 64000002
	v_mfma_i32_16x16x32_i8 v[144:147], a[128:129], a[24:25], v[144:147]// 000000003B44: D3D70090 1E423180
	v_mfma_i32_16x16x32_i8 v[144:147], a[130:131], a[26:27], v[144:147]// 000000003B4C: D3D70090 1E423582
	v_mfma_i32_16x16x32_i8 v[144:147], a[132:133], a[28:29], v[144:147]// 000000003B54: D3D70090 1E423984
	v_mfma_i32_16x16x32_i8 v[144:147], a[134:135], a[30:31], v[144:147]// 000000003B5C: D3D70090 1E423D86
	ds_read_b128 a[104:107], v2 offset:17536                   // 000000003B64: DBFE4480 68000002
	ds_read_b128 a[108:111], v2 offset:17600                   // 000000003B6C: DBFE44C0 6C000002
	v_mfma_i32_16x16x32_i8 v[172:175], a[136:137], a[24:25], v[172:175]// 000000003B74: D3D700AC 1EB23188
	v_mfma_i32_16x16x32_i8 v[172:175], a[138:139], a[26:27], v[172:175]// 000000003B7C: D3D700AC 1EB2358A
	v_mfma_i32_16x16x32_i8 v[172:175], a[140:141], a[28:29], v[172:175]// 000000003B84: D3D700AC 1EB2398C
	v_mfma_i32_16x16x32_i8 v[172:175], a[142:143], a[30:31], v[172:175]// 000000003B8C: D3D700AC 1EB23D8E
	v_mfma_i32_16x16x32_i8 v[148:151], a[128:129], a[32:33], v[148:151]// 000000003B94: D3D70094 1E524180
	v_mfma_i32_16x16x32_i8 v[148:151], a[130:131], a[34:35], v[148:151]// 000000003B9C: D3D70094 1E524582
	v_mfma_i32_16x16x32_i8 v[148:151], a[132:133], a[36:37], v[148:151]// 000000003BA4: D3D70094 1E524984
	v_mfma_i32_16x16x32_i8 v[148:151], a[134:135], a[38:39], v[148:151]// 000000003BAC: D3D70094 1E524D86
	v_mfma_i32_16x16x32_i8 v[176:179], a[136:137], a[32:33], v[176:179]// 000000003BB4: D3D700B0 1EC24188
	v_mfma_i32_16x16x32_i8 v[176:179], a[138:139], a[34:35], v[176:179]// 000000003BBC: D3D700B0 1EC2458A
	v_mfma_i32_16x16x32_i8 v[176:179], a[140:141], a[36:37], v[176:179]// 000000003BC4: D3D700B0 1EC2498C
	v_mfma_i32_16x16x32_i8 v[176:179], a[142:143], a[38:39], v[176:179]// 000000003BCC: D3D700B0 1EC24D8E
	v_mfma_i32_16x16x32_i8 v[152:155], a[128:129], a[40:41], v[152:155]// 000000003BD4: D3D70098 1E625180
	v_mfma_i32_16x16x32_i8 v[152:155], a[130:131], a[42:43], v[152:155]// 000000003BDC: D3D70098 1E625582
	v_mfma_i32_16x16x32_i8 v[152:155], a[132:133], a[44:45], v[152:155]// 000000003BE4: D3D70098 1E625984
	v_mfma_i32_16x16x32_i8 v[152:155], a[134:135], a[46:47], v[152:155]// 000000003BEC: D3D70098 1E625D86
	v_mfma_i32_16x16x32_i8 v[180:183], a[136:137], a[40:41], v[180:183]// 000000003BF4: D3D700B4 1ED25188
	v_mfma_i32_16x16x32_i8 v[180:183], a[138:139], a[42:43], v[180:183]// 000000003BFC: D3D700B4 1ED2558A
	v_mfma_i32_16x16x32_i8 v[180:183], a[140:141], a[44:45], v[180:183]// 000000003C04: D3D700B4 1ED2598C
	v_mfma_i32_16x16x32_i8 v[180:183], a[142:143], a[46:47], v[180:183]// 000000003C0C: D3D700B4 1ED25D8E
	v_mfma_i32_16x16x32_i8 v[156:159], a[128:129], a[48:49], v[156:159]// 000000003C14: D3D7009C 1E726180
	s_add_u32 s60, 0x180, s80                                  // 000000003C1C: 803C50FF 00000180
	s_cmp_lt_u32 s60, s81                                      // 000000003C24: BF0A513C
	s_cselect_b32 s57, s57, 0                                  // 000000003C28: 85398039
	v_mfma_i32_16x16x32_i8 v[156:159], a[130:131], a[50:51], v[156:159]// 000000003C2C: D3D7009C 1E726582
	s_add_u32 s60, 0x100, s80                                  // 000000003C34: 803C50FF 00000100
	s_cmp_lt_u32 s60, s81                                      // 000000003C3C: BF0A513C
	s_cselect_b32 s58, s58, 0                                  // 000000003C40: 853A803A
	v_mfma_i32_16x16x32_i8 v[156:159], a[132:133], a[52:53], v[156:159]// 000000003C44: D3D7009C 1E726984
	s_add_u32 s60, 0x100, s80                                  // 000000003C4C: 803C50FF 00000100
	s_cmp_lt_u32 s60, s81                                      // 000000003C54: BF0A513C
	s_cselect_b32 s83, s83, 0                                  // 000000003C58: 85538053
	v_mfma_i32_16x16x32_i8 v[156:159], a[134:135], a[54:55], v[156:159]// 000000003C5C: D3D7009C 1E726D86
	s_add_u32 s24, s58, s24                                    // 000000003C64: 8018183A
	s_addc_u32 s25, 0, s25                                     // 000000003C68: 82191980
	v_mfma_i32_16x16x32_i8 v[184:187], a[136:137], a[48:49], v[184:187]// 000000003C6C: D3D700B8 1EE26188
	s_add_u32 s20, s57, s20                                    // 000000003C74: 80141439
	s_addc_u32 s21, 0, s21                                     // 000000003C78: 82151580
	v_mfma_i32_16x16x32_i8 v[184:187], a[138:139], a[50:51], v[184:187]// 000000003C7C: D3D700B8 1EE2658A
	s_add_u32 s84, s83, s84                                    // 000000003C84: 80545453
	s_addc_u32 s85, 0, s85                                     // 000000003C88: 82555580
	v_mfma_i32_16x16x32_i8 v[184:187], a[140:141], a[52:53], v[184:187]// 000000003C8C: D3D700B8 1EE2698C
	v_mfma_i32_16x16x32_i8 v[184:187], a[142:143], a[54:55], v[184:187]// 000000003C94: D3D700B8 1EE26D8E
	s_addk_i32 s80, 0x80                                       // 000000003C9C: B7500080
	s_cmp_lt_i32 s80, s81                                      // 000000003CA0: BF045150
	s_cbranch_scc0 label_0B72                                  // 000000003CA4: BF8406C8
	s_waitcnt vmcnt(18) lgkmcnt(0)                             // 000000003CA8: BF8C4072
	v_mfma_i32_16x16x32_i8 v[76:79], a[144:145], a[56:57], v[76:79]// 000000003CAC: D3D7004C 1D327190
	v_mfma_i32_16x16x32_i8 v[76:79], a[146:147], a[58:59], v[76:79]// 000000003CB4: D3D7004C 1D327592
	buffer_load_dwordx4 a[128:131], v72, s[24:27], 0 offen     // 000000003CBC: E05C1000 80868048
	v_mfma_i32_16x16x32_i8 v[76:79], a[148:149], a[60:61], v[76:79]// 000000003CC4: D3D7004C 1D327994
	v_mfma_i32_16x16x32_i8 v[76:79], a[150:151], a[62:63], v[76:79]// 000000003CCC: D3D7004C 1D327D96
	v_mfma_i32_16x16x32_i8 v[104:107], a[152:153], a[56:57], v[104:107]// 000000003CD4: D3D70068 1DA27198
	v_mfma_i32_16x16x32_i8 v[104:107], a[154:155], a[58:59], v[104:107]// 000000003CDC: D3D70068 1DA2759A
	buffer_load_dwordx4 a[132:135], v72, s[24:27], 0 offen offset:1024// 000000003CE4: E05C1400 80868448
	v_mfma_i32_16x16x32_i8 v[104:107], a[156:157], a[60:61], v[104:107]// 000000003CEC: D3D70068 1DA2799C
	v_mfma_i32_16x16x32_i8 v[104:107], a[158:159], a[62:63], v[104:107]// 000000003CF4: D3D70068 1DA27D9E
	v_mfma_i32_16x16x32_i8 v[80:83], a[144:145], a[64:65], v[80:83]// 000000003CFC: D3D70050 1D428190
	v_mfma_i32_16x16x32_i8 v[80:83], a[146:147], a[66:67], v[80:83]// 000000003D04: D3D70050 1D428592
	buffer_load_dwordx4 a[136:139], v73, s[24:27], 0 offen     // 000000003D0C: E05C1000 80868849
	v_mfma_i32_16x16x32_i8 v[80:83], a[148:149], a[68:69], v[80:83]// 000000003D14: D3D70050 1D428994
	v_mfma_i32_16x16x32_i8 v[80:83], a[150:151], a[70:71], v[80:83]// 000000003D1C: D3D70050 1D428D96
	v_mfma_i32_16x16x32_i8 v[108:111], a[152:153], a[64:65], v[108:111]// 000000003D24: D3D7006C 1DB28198
	v_mfma_i32_16x16x32_i8 v[108:111], a[154:155], a[66:67], v[108:111]// 000000003D2C: D3D7006C 1DB2859A
	buffer_load_dwordx4 a[140:143], v73, s[24:27], 0 offen offset:1024// 000000003D34: E05C1400 80868C49
	buffer_load_dword v58, s[20:23], 0 offen lds               // 000000003D3C: E0511000 8005003A
	s_add_u32 m0, 0x100, s48                                   // 000000003D44: 807C30FF 00000100
	v_mfma_i32_16x16x32_i8 v[108:111], a[156:157], a[68:69], v[108:111]// 000000003D4C: D3D7006C 1DB2899C
	v_mfma_i32_16x16x32_i8 v[108:111], a[158:159], a[70:71], v[108:111]// 000000003D54: D3D7006C 1DB28D9E
	buffer_load_dword v59, s[20:23], 0 offen lds               // 000000003D5C: E0511000 8005003B
	s_add_u32 m0, 0x200, s48                                   // 000000003D64: 807C30FF 00000200
	v_mfma_i32_16x16x32_i8 v[84:87], a[144:145], a[72:73], v[84:87]// 000000003D6C: D3D70054 1D529190
	v_mfma_i32_16x16x32_i8 v[84:87], a[146:147], a[74:75], v[84:87]// 000000003D74: D3D70054 1D529592
	buffer_load_dword v60, s[20:23], 0 offen lds               // 000000003D7C: E0511000 8005003C
	s_add_u32 m0, 0x300, s48                                   // 000000003D84: 807C30FF 00000300
	v_mfma_i32_16x16x32_i8 v[84:87], a[148:149], a[76:77], v[84:87]// 000000003D8C: D3D70054 1D529994
	v_mfma_i32_16x16x32_i8 v[84:87], a[150:151], a[78:79], v[84:87]// 000000003D94: D3D70054 1D529D96
	buffer_load_dword v61, s[20:23], 0 offen lds               // 000000003D9C: E0511000 8005003D
	s_add_u32 m0, 0x400, s48                                   // 000000003DA4: 807C30FF 00000400
	v_mfma_i32_16x16x32_i8 v[112:115], a[152:153], a[72:73], v[112:115]// 000000003DAC: D3D70070 1DC29198
	v_mfma_i32_16x16x32_i8 v[112:115], a[154:155], a[74:75], v[112:115]// 000000003DB4: D3D70070 1DC2959A
	buffer_load_dword v62, s[20:23], 0 offen lds               // 000000003DBC: E0511000 8005003E
	s_add_u32 m0, 0x500, s48                                   // 000000003DC4: 807C30FF 00000500
	v_mfma_i32_16x16x32_i8 v[112:115], a[156:157], a[76:77], v[112:115]// 000000003DCC: D3D70070 1DC2999C
	v_mfma_i32_16x16x32_i8 v[112:115], a[158:159], a[78:79], v[112:115]// 000000003DD4: D3D70070 1DC29D9E
	buffer_load_dword v63, s[20:23], 0 offen lds               // 000000003DDC: E0511000 8005003F
	s_add_u32 m0, 0x600, s48                                   // 000000003DE4: 807C30FF 00000600
	v_mfma_i32_16x16x32_i8 v[88:91], a[144:145], a[80:81], v[88:91]// 000000003DEC: D3D70058 1D62A190
	v_mfma_i32_16x16x32_i8 v[88:91], a[146:147], a[82:83], v[88:91]// 000000003DF4: D3D70058 1D62A592
	buffer_load_dword v64, s[20:23], 0 offen lds               // 000000003DFC: E0511000 80050040
	s_add_u32 m0, 0x700, s48                                   // 000000003E04: 807C30FF 00000700
	v_mfma_i32_16x16x32_i8 v[88:91], a[148:149], a[84:85], v[88:91]// 000000003E0C: D3D70058 1D62A994
	v_mfma_i32_16x16x32_i8 v[88:91], a[150:151], a[86:87], v[88:91]// 000000003E14: D3D70058 1D62AD96
	buffer_load_dword v65, s[20:23], 0 offen lds               // 000000003E1C: E0511000 80050041
	s_add_u32 m0, 0x800, s48                                   // 000000003E24: 807C30FF 00000800
	v_mfma_i32_16x16x32_i8 v[116:119], a[152:153], a[80:81], v[116:119]// 000000003E2C: D3D70074 1DD2A198
	v_mfma_i32_16x16x32_i8 v[116:119], a[154:155], a[82:83], v[116:119]// 000000003E34: D3D70074 1DD2A59A
	buffer_load_dword v66, s[20:23], 0 offen lds               // 000000003E3C: E0511000 80050042
	s_add_u32 m0, 0x900, s48                                   // 000000003E44: 807C30FF 00000900
	v_mfma_i32_16x16x32_i8 v[116:119], a[156:157], a[84:85], v[116:119]// 000000003E4C: D3D70074 1DD2A99C
	v_mfma_i32_16x16x32_i8 v[116:119], a[158:159], a[86:87], v[116:119]// 000000003E54: D3D70074 1DD2AD9E
	buffer_load_dword v67, s[20:23], 0 offen lds               // 000000003E5C: E0511000 80050043
	s_add_u32 m0, 0xa00, s48                                   // 000000003E64: 807C30FF 00000A00
	v_mfma_i32_16x16x32_i8 v[92:95], a[144:145], a[88:89], v[92:95]// 000000003E6C: D3D7005C 1D72B190
	v_mfma_i32_16x16x32_i8 v[92:95], a[146:147], a[90:91], v[92:95]// 000000003E74: D3D7005C 1D72B592
	buffer_load_dword v68, s[20:23], 0 offen lds               // 000000003E7C: E0511000 80050044
	s_add_u32 m0, 0xb00, s48                                   // 000000003E84: 807C30FF 00000B00
	v_mfma_i32_16x16x32_i8 v[92:95], a[148:149], a[92:93], v[92:95]// 000000003E8C: D3D7005C 1D72B994
	v_mfma_i32_16x16x32_i8 v[92:95], a[150:151], a[94:95], v[92:95]// 000000003E94: D3D7005C 1D72BD96
	buffer_load_dword v69, s[20:23], 0 offen lds               // 000000003E9C: E0511000 80050045
	s_add_u32 m0, 0xc00, s48                                   // 000000003EA4: 807C30FF 00000C00
	v_mfma_i32_16x16x32_i8 v[120:123], a[152:153], a[88:89], v[120:123]// 000000003EAC: D3D70078 1DE2B198
	v_mfma_i32_16x16x32_i8 v[120:123], a[154:155], a[90:91], v[120:123]// 000000003EB4: D3D70078 1DE2B59A
	buffer_load_dword v70, s[20:23], 0 offen lds               // 000000003EBC: E0511000 80050046
	s_add_u32 m0, 0xd00, s48                                   // 000000003EC4: 807C30FF 00000D00
	v_mfma_i32_16x16x32_i8 v[120:123], a[156:157], a[92:93], v[120:123]// 000000003ECC: D3D70078 1DE2B99C
	v_mfma_i32_16x16x32_i8 v[120:123], a[158:159], a[94:95], v[120:123]// 000000003ED4: D3D70078 1DE2BD9E
	buffer_load_dword v71, s[20:23], 0 offen lds               // 000000003EDC: E0511000 80050047
	s_add_u32 m0, 0, s49                                       // 000000003EE4: 807C3180
	v_mfma_i32_16x16x32_i8 v[96:99], a[144:145], a[96:97], v[96:99]// 000000003EE8: D3D70060 1D82C190
	v_mfma_i32_16x16x32_i8 v[96:99], a[146:147], a[98:99], v[96:99]// 000000003EF0: D3D70060 1D82C592
	v_mfma_i32_16x16x32_i8 v[96:99], a[148:149], a[100:101], v[96:99]// 000000003EF8: D3D70060 1D82C994
	v_mfma_i32_16x16x32_i8 v[96:99], a[150:151], a[102:103], v[96:99]// 000000003F00: D3D70060 1D82CD96
	v_mfma_i32_16x16x32_i8 v[124:127], a[152:153], a[96:97], v[124:127]// 000000003F08: D3D7007C 1DF2C198
	v_mfma_i32_16x16x32_i8 v[124:127], a[154:155], a[98:99], v[124:127]// 000000003F10: D3D7007C 1DF2C59A
	v_mfma_i32_16x16x32_i8 v[124:127], a[156:157], a[100:101], v[124:127]// 000000003F18: D3D7007C 1DF2C99C
	v_mfma_i32_16x16x32_i8 v[124:127], a[158:159], a[102:103], v[124:127]// 000000003F20: D3D7007C 1DF2CD9E
	v_mfma_i32_16x16x32_i8 v[100:103], a[144:145], a[104:105], v[100:103]// 000000003F28: D3D70064 1D92D190
	v_mfma_i32_16x16x32_i8 v[100:103], a[146:147], a[106:107], v[100:103]// 000000003F30: D3D70064 1D92D592
	v_mfma_i32_16x16x32_i8 v[100:103], a[148:149], a[108:109], v[100:103]// 000000003F38: D3D70064 1D92D994
	v_mfma_i32_16x16x32_i8 v[100:103], a[150:151], a[110:111], v[100:103]// 000000003F40: D3D70064 1D92DD96
	v_mfma_i32_16x16x32_i8 v[128:131], a[152:153], a[104:105], v[128:131]// 000000003F48: D3D70080 1E02D198
	v_mfma_i32_16x16x32_i8 v[128:131], a[154:155], a[106:107], v[128:131]// 000000003F50: D3D70080 1E02D59A
	v_mfma_i32_16x16x32_i8 v[128:131], a[156:157], a[108:109], v[128:131]// 000000003F58: D3D70080 1E02D99C
	v_mfma_i32_16x16x32_i8 v[128:131], a[158:159], a[110:111], v[128:131]// 000000003F60: D3D70080 1E02DD9E
	s_waitcnt vmcnt(18)                                        // 000000003F68: BF8C4F72
	s_barrier                                                  // 000000003F6C: BF8A0000
	v_mfma_i32_16x16x32_i8 v[132:135], a[112:113], a[56:57], v[132:135]// 000000003F70: D3D70084 1E127170
	v_mfma_i32_16x16x32_i8 v[132:135], a[114:115], a[58:59], v[132:135]// 000000003F78: D3D70084 1E127572
	buffer_load_dwordx4 a[144:147], v72, s[84:87], 0 offen     // 000000003F80: E05C1000 80959048
	v_mfma_i32_16x16x32_i8 v[132:135], a[116:117], a[60:61], v[132:135]// 000000003F88: D3D70084 1E127974
	v_mfma_i32_16x16x32_i8 v[132:135], a[118:119], a[62:63], v[132:135]// 000000003F90: D3D70084 1E127D76
	ds_read_b128 a[0:3], v2 offset:28928                       // 000000003F98: DBFE7100 00000002
	ds_read_b128 a[4:7], v2 offset:28992                       // 000000003FA0: DBFE7140 04000002
	v_mfma_i32_16x16x32_i8 v[160:163], a[120:121], a[56:57], v[160:163]// 000000003FA8: D3D700A0 1E827178
	v_mfma_i32_16x16x32_i8 v[160:163], a[122:123], a[58:59], v[160:163]// 000000003FB0: D3D700A0 1E82757A
	buffer_load_dwordx4 a[148:151], v72, s[84:87], 0 offen offset:1024// 000000003FB8: E05C1400 80959448
	v_mfma_i32_16x16x32_i8 v[160:163], a[124:125], a[60:61], v[160:163]// 000000003FC0: D3D700A0 1E82797C
	v_mfma_i32_16x16x32_i8 v[160:163], a[126:127], a[62:63], v[160:163]// 000000003FC8: D3D700A0 1E827D7E
	ds_read_b128 a[8:11], v2 offset:29440                      // 000000003FD0: DBFE7300 08000002
	ds_read_b128 a[12:15], v2 offset:29504                     // 000000003FD8: DBFE7340 0C000002
	v_mfma_i32_16x16x32_i8 v[136:139], a[112:113], a[64:65], v[136:139]// 000000003FE0: D3D70088 1E228170
	v_mfma_i32_16x16x32_i8 v[136:139], a[114:115], a[66:67], v[136:139]// 000000003FE8: D3D70088 1E228572
	buffer_load_dwordx4 a[152:155], v73, s[84:87], 0 offen     // 000000003FF0: E05C1000 80959849
	v_mfma_i32_16x16x32_i8 v[136:139], a[116:117], a[68:69], v[136:139]// 000000003FF8: D3D70088 1E228974
	v_mfma_i32_16x16x32_i8 v[136:139], a[118:119], a[70:71], v[136:139]// 000000004000: D3D70088 1E228D76
	ds_read_b128 a[16:19], v2 offset:29952                     // 000000004008: DBFE7500 10000002
	ds_read_b128 a[20:23], v2 offset:30016                     // 000000004010: DBFE7540 14000002
	v_mfma_i32_16x16x32_i8 v[164:167], a[120:121], a[64:65], v[164:167]// 000000004018: D3D700A4 1E928178
	v_mfma_i32_16x16x32_i8 v[164:167], a[122:123], a[66:67], v[164:167]// 000000004020: D3D700A4 1E92857A
	buffer_load_dwordx4 a[156:159], v73, s[84:87], 0 offen offset:1024// 000000004028: E05C1400 80959C49
	v_mfma_i32_16x16x32_i8 v[164:167], a[124:125], a[68:69], v[164:167]// 000000004030: D3D700A4 1E92897C
	v_mfma_i32_16x16x32_i8 v[164:167], a[126:127], a[70:71], v[164:167]// 000000004038: D3D700A4 1E928D7E
	ds_read_b128 a[24:27], v2 offset:30464                     // 000000004040: DBFE7700 18000002
	ds_read_b128 a[28:31], v2 offset:30528                     // 000000004048: DBFE7740 1C000002
	v_mfma_i32_16x16x32_i8 v[140:143], a[112:113], a[72:73], v[140:143]// 000000004050: D3D7008C 1E329170
	v_mfma_i32_16x16x32_i8 v[140:143], a[114:115], a[74:75], v[140:143]// 000000004058: D3D7008C 1E329572
	v_mfma_i32_16x16x32_i8 v[140:143], a[116:117], a[76:77], v[140:143]// 000000004060: D3D7008C 1E329974
	v_mfma_i32_16x16x32_i8 v[140:143], a[118:119], a[78:79], v[140:143]// 000000004068: D3D7008C 1E329D76
	ds_read_b128 a[32:35], v2 offset:30976                     // 000000004070: DBFE7900 20000002
	ds_read_b128 a[36:39], v2 offset:31040                     // 000000004078: DBFE7940 24000002
	v_mfma_i32_16x16x32_i8 v[168:171], a[120:121], a[72:73], v[168:171]// 000000004080: D3D700A8 1EA29178
	v_mfma_i32_16x16x32_i8 v[168:171], a[122:123], a[74:75], v[168:171]// 000000004088: D3D700A8 1EA2957A
	v_mfma_i32_16x16x32_i8 v[168:171], a[124:125], a[76:77], v[168:171]// 000000004090: D3D700A8 1EA2997C
	v_mfma_i32_16x16x32_i8 v[168:171], a[126:127], a[78:79], v[168:171]// 000000004098: D3D700A8 1EA29D7E
	ds_read_b128 a[40:43], v2 offset:31488                     // 0000000040A0: DBFE7B00 28000002
	ds_read_b128 a[44:47], v2 offset:31552                     // 0000000040A8: DBFE7B40 2C000002
	v_mfma_i32_16x16x32_i8 v[144:147], a[112:113], a[80:81], v[144:147]// 0000000040B0: D3D70090 1E42A170
	v_mfma_i32_16x16x32_i8 v[144:147], a[114:115], a[82:83], v[144:147]// 0000000040B8: D3D70090 1E42A572
	v_mfma_i32_16x16x32_i8 v[144:147], a[116:117], a[84:85], v[144:147]// 0000000040C0: D3D70090 1E42A974
	v_mfma_i32_16x16x32_i8 v[144:147], a[118:119], a[86:87], v[144:147]// 0000000040C8: D3D70090 1E42AD76
	ds_read_b128 a[48:51], v2 offset:32000                     // 0000000040D0: DBFE7D00 30000002
	ds_read_b128 a[52:55], v2 offset:32064                     // 0000000040D8: DBFE7D40 34000002
	v_mfma_i32_16x16x32_i8 v[172:175], a[120:121], a[80:81], v[172:175]// 0000000040E0: D3D700AC 1EB2A178
	v_mfma_i32_16x16x32_i8 v[172:175], a[122:123], a[82:83], v[172:175]// 0000000040E8: D3D700AC 1EB2A57A
	v_mfma_i32_16x16x32_i8 v[172:175], a[124:125], a[84:85], v[172:175]// 0000000040F0: D3D700AC 1EB2A97C
	v_mfma_i32_16x16x32_i8 v[172:175], a[126:127], a[86:87], v[172:175]// 0000000040F8: D3D700AC 1EB2AD7E
	v_mfma_i32_16x16x32_i8 v[148:151], a[112:113], a[88:89], v[148:151]// 000000004100: D3D70094 1E52B170
	v_mfma_i32_16x16x32_i8 v[148:151], a[114:115], a[90:91], v[148:151]// 000000004108: D3D70094 1E52B572
	v_mfma_i32_16x16x32_i8 v[148:151], a[116:117], a[92:93], v[148:151]// 000000004110: D3D70094 1E52B974
	v_mfma_i32_16x16x32_i8 v[148:151], a[118:119], a[94:95], v[148:151]// 000000004118: D3D70094 1E52BD76
	v_mfma_i32_16x16x32_i8 v[176:179], a[120:121], a[88:89], v[176:179]// 000000004120: D3D700B0 1EC2B178
	v_mfma_i32_16x16x32_i8 v[176:179], a[122:123], a[90:91], v[176:179]// 000000004128: D3D700B0 1EC2B57A
	v_mfma_i32_16x16x32_i8 v[176:179], a[124:125], a[92:93], v[176:179]// 000000004130: D3D700B0 1EC2B97C
	v_mfma_i32_16x16x32_i8 v[176:179], a[126:127], a[94:95], v[176:179]// 000000004138: D3D700B0 1EC2BD7E
	v_mfma_i32_16x16x32_i8 v[152:155], a[112:113], a[96:97], v[152:155]// 000000004140: D3D70098 1E62C170
	v_mfma_i32_16x16x32_i8 v[152:155], a[114:115], a[98:99], v[152:155]// 000000004148: D3D70098 1E62C572
	v_mfma_i32_16x16x32_i8 v[152:155], a[116:117], a[100:101], v[152:155]// 000000004150: D3D70098 1E62C974
	v_mfma_i32_16x16x32_i8 v[152:155], a[118:119], a[102:103], v[152:155]// 000000004158: D3D70098 1E62CD76
	v_mfma_i32_16x16x32_i8 v[180:183], a[120:121], a[96:97], v[180:183]// 000000004160: D3D700B4 1ED2C178
	v_mfma_i32_16x16x32_i8 v[180:183], a[122:123], a[98:99], v[180:183]// 000000004168: D3D700B4 1ED2C57A
	v_mfma_i32_16x16x32_i8 v[180:183], a[124:125], a[100:101], v[180:183]// 000000004170: D3D700B4 1ED2C97C
	v_mfma_i32_16x16x32_i8 v[180:183], a[126:127], a[102:103], v[180:183]// 000000004178: D3D700B4 1ED2CD7E
	v_mfma_i32_16x16x32_i8 v[156:159], a[112:113], a[104:105], v[156:159]// 000000004180: D3D7009C 1E72D170
	s_add_u32 s60, 0x180, s80                                  // 000000004188: 803C50FF 00000180
	s_cmp_lt_u32 s60, s81                                      // 000000004190: BF0A513C
	s_cselect_b32 s57, s57, 0                                  // 000000004194: 85398039
	v_mfma_i32_16x16x32_i8 v[156:159], a[114:115], a[106:107], v[156:159]// 000000004198: D3D7009C 1E72D572
	s_add_u32 s60, 0x100, s80                                  // 0000000041A0: 803C50FF 00000100
	s_cmp_lt_u32 s60, s81                                      // 0000000041A8: BF0A513C
	s_cselect_b32 s58, s58, 0                                  // 0000000041AC: 853A803A
	v_mfma_i32_16x16x32_i8 v[156:159], a[116:117], a[108:109], v[156:159]// 0000000041B0: D3D7009C 1E72D974
	s_add_u32 s60, 0x100, s80                                  // 0000000041B8: 803C50FF 00000100
	s_cmp_lt_u32 s60, s81                                      // 0000000041C0: BF0A513C
	s_cselect_b32 s83, s83, 0                                  // 0000000041C4: 85538053
	v_mfma_i32_16x16x32_i8 v[156:159], a[118:119], a[110:111], v[156:159]// 0000000041C8: D3D7009C 1E72DD76
	s_add_u32 s24, s58, s24                                    // 0000000041D0: 8018183A
	s_addc_u32 s25, 0, s25                                     // 0000000041D4: 82191980
	v_mfma_i32_16x16x32_i8 v[184:187], a[120:121], a[104:105], v[184:187]// 0000000041D8: D3D700B8 1EE2D178
	s_add_u32 s20, s57, s20                                    // 0000000041E0: 80141439
	s_addc_u32 s21, 0, s21                                     // 0000000041E4: 82151580
	v_mfma_i32_16x16x32_i8 v[184:187], a[122:123], a[106:107], v[184:187]// 0000000041E8: D3D700B8 1EE2D57A
	s_add_u32 s84, s83, s84                                    // 0000000041F0: 80545453
	s_addc_u32 s85, 0, s85                                     // 0000000041F4: 82555580
	v_mfma_i32_16x16x32_i8 v[184:187], a[124:125], a[108:109], v[184:187]// 0000000041F8: D3D700B8 1EE2D97C
	v_mfma_i32_16x16x32_i8 v[184:187], a[126:127], a[110:111], v[184:187]// 000000004200: D3D700B8 1EE2DD7E
	s_addk_i32 s80, 0x80                                       // 000000004208: B7500080
	s_cmp_lt_i32 s80, s81                                      // 00000000420C: BF045150
	s_cbranch_scc0 label_0B72                                  // 000000004210: BF84056D
	s_waitcnt vmcnt(18) lgkmcnt(0)                             // 000000004214: BF8C4072
	v_mfma_i32_16x16x32_i8 v[76:79], a[128:129], a[0:1], v[76:79]// 000000004218: D3D7004C 1D320180
	v_mfma_i32_16x16x32_i8 v[76:79], a[130:131], a[2:3], v[76:79]// 000000004220: D3D7004C 1D320582
	buffer_load_dwordx4 a[112:115], v72, s[24:27], 0 offen     // 000000004228: E05C1000 80867048
	v_mfma_i32_16x16x32_i8 v[76:79], a[132:133], a[4:5], v[76:79]// 000000004230: D3D7004C 1D320984
	v_mfma_i32_16x16x32_i8 v[76:79], a[134:135], a[6:7], v[76:79]// 000000004238: D3D7004C 1D320D86
	v_mfma_i32_16x16x32_i8 v[104:107], a[136:137], a[0:1], v[104:107]// 000000004240: D3D70068 1DA20188
	v_mfma_i32_16x16x32_i8 v[104:107], a[138:139], a[2:3], v[104:107]// 000000004248: D3D70068 1DA2058A
	buffer_load_dwordx4 a[116:119], v72, s[24:27], 0 offen offset:1024// 000000004250: E05C1400 80867448
	v_mfma_i32_16x16x32_i8 v[104:107], a[140:141], a[4:5], v[104:107]// 000000004258: D3D70068 1DA2098C
	v_mfma_i32_16x16x32_i8 v[104:107], a[142:143], a[6:7], v[104:107]// 000000004260: D3D70068 1DA20D8E
	v_mfma_i32_16x16x32_i8 v[80:83], a[128:129], a[8:9], v[80:83]// 000000004268: D3D70050 1D421180
	v_mfma_i32_16x16x32_i8 v[80:83], a[130:131], a[10:11], v[80:83]// 000000004270: D3D70050 1D421582
	buffer_load_dwordx4 a[120:123], v73, s[24:27], 0 offen     // 000000004278: E05C1000 80867849
	v_mfma_i32_16x16x32_i8 v[80:83], a[132:133], a[12:13], v[80:83]// 000000004280: D3D70050 1D421984
	v_mfma_i32_16x16x32_i8 v[80:83], a[134:135], a[14:15], v[80:83]// 000000004288: D3D70050 1D421D86
	v_mfma_i32_16x16x32_i8 v[108:111], a[136:137], a[8:9], v[108:111]// 000000004290: D3D7006C 1DB21188
	v_mfma_i32_16x16x32_i8 v[108:111], a[138:139], a[10:11], v[108:111]// 000000004298: D3D7006C 1DB2158A
	buffer_load_dwordx4 a[124:127], v73, s[24:27], 0 offen offset:1024// 0000000042A0: E05C1400 80867C49
	buffer_load_dword v58, s[20:23], 0 offen lds               // 0000000042A8: E0511000 8005003A
	s_add_u32 m0, 0x100, s49                                   // 0000000042B0: 807C31FF 00000100
	v_mfma_i32_16x16x32_i8 v[108:111], a[140:141], a[12:13], v[108:111]// 0000000042B8: D3D7006C 1DB2198C
	v_mfma_i32_16x16x32_i8 v[108:111], a[142:143], a[14:15], v[108:111]// 0000000042C0: D3D7006C 1DB21D8E
	buffer_load_dword v59, s[20:23], 0 offen lds               // 0000000042C8: E0511000 8005003B
	s_add_u32 m0, 0x200, s49                                   // 0000000042D0: 807C31FF 00000200
	v_mfma_i32_16x16x32_i8 v[84:87], a[128:129], a[16:17], v[84:87]// 0000000042D8: D3D70054 1D522180
	v_mfma_i32_16x16x32_i8 v[84:87], a[130:131], a[18:19], v[84:87]// 0000000042E0: D3D70054 1D522582
	buffer_load_dword v60, s[20:23], 0 offen lds               // 0000000042E8: E0511000 8005003C
	s_add_u32 m0, 0x300, s49                                   // 0000000042F0: 807C31FF 00000300
	v_mfma_i32_16x16x32_i8 v[84:87], a[132:133], a[20:21], v[84:87]// 0000000042F8: D3D70054 1D522984
	v_mfma_i32_16x16x32_i8 v[84:87], a[134:135], a[22:23], v[84:87]// 000000004300: D3D70054 1D522D86
	buffer_load_dword v61, s[20:23], 0 offen lds               // 000000004308: E0511000 8005003D
	s_add_u32 m0, 0x400, s49                                   // 000000004310: 807C31FF 00000400
	v_mfma_i32_16x16x32_i8 v[112:115], a[136:137], a[16:17], v[112:115]// 000000004318: D3D70070 1DC22188
	v_mfma_i32_16x16x32_i8 v[112:115], a[138:139], a[18:19], v[112:115]// 000000004320: D3D70070 1DC2258A
	buffer_load_dword v62, s[20:23], 0 offen lds               // 000000004328: E0511000 8005003E
	s_add_u32 m0, 0x500, s49                                   // 000000004330: 807C31FF 00000500
	v_mfma_i32_16x16x32_i8 v[112:115], a[140:141], a[20:21], v[112:115]// 000000004338: D3D70070 1DC2298C
	v_mfma_i32_16x16x32_i8 v[112:115], a[142:143], a[22:23], v[112:115]// 000000004340: D3D70070 1DC22D8E
	buffer_load_dword v63, s[20:23], 0 offen lds               // 000000004348: E0511000 8005003F
	s_add_u32 m0, 0x600, s49                                   // 000000004350: 807C31FF 00000600
	v_mfma_i32_16x16x32_i8 v[88:91], a[128:129], a[24:25], v[88:91]// 000000004358: D3D70058 1D623180
	v_mfma_i32_16x16x32_i8 v[88:91], a[130:131], a[26:27], v[88:91]// 000000004360: D3D70058 1D623582
	buffer_load_dword v64, s[20:23], 0 offen lds               // 000000004368: E0511000 80050040
	s_add_u32 m0, 0x700, s49                                   // 000000004370: 807C31FF 00000700
	v_mfma_i32_16x16x32_i8 v[88:91], a[132:133], a[28:29], v[88:91]// 000000004378: D3D70058 1D623984
	v_mfma_i32_16x16x32_i8 v[88:91], a[134:135], a[30:31], v[88:91]// 000000004380: D3D70058 1D623D86
	buffer_load_dword v65, s[20:23], 0 offen lds               // 000000004388: E0511000 80050041
	s_add_u32 m0, 0x800, s49                                   // 000000004390: 807C31FF 00000800
	v_mfma_i32_16x16x32_i8 v[116:119], a[136:137], a[24:25], v[116:119]// 000000004398: D3D70074 1DD23188
	v_mfma_i32_16x16x32_i8 v[116:119], a[138:139], a[26:27], v[116:119]// 0000000043A0: D3D70074 1DD2358A
	buffer_load_dword v66, s[20:23], 0 offen lds               // 0000000043A8: E0511000 80050042
	s_add_u32 m0, 0x900, s49                                   // 0000000043B0: 807C31FF 00000900
	v_mfma_i32_16x16x32_i8 v[116:119], a[140:141], a[28:29], v[116:119]// 0000000043B8: D3D70074 1DD2398C
	v_mfma_i32_16x16x32_i8 v[116:119], a[142:143], a[30:31], v[116:119]// 0000000043C0: D3D70074 1DD23D8E
	buffer_load_dword v67, s[20:23], 0 offen lds               // 0000000043C8: E0511000 80050043
	s_add_u32 m0, 0xa00, s49                                   // 0000000043D0: 807C31FF 00000A00
	v_mfma_i32_16x16x32_i8 v[92:95], a[128:129], a[32:33], v[92:95]// 0000000043D8: D3D7005C 1D724180
	v_mfma_i32_16x16x32_i8 v[92:95], a[130:131], a[34:35], v[92:95]// 0000000043E0: D3D7005C 1D724582
	buffer_load_dword v68, s[20:23], 0 offen lds               // 0000000043E8: E0511000 80050044
	s_add_u32 m0, 0xb00, s49                                   // 0000000043F0: 807C31FF 00000B00
	v_mfma_i32_16x16x32_i8 v[92:95], a[132:133], a[36:37], v[92:95]// 0000000043F8: D3D7005C 1D724984
	v_mfma_i32_16x16x32_i8 v[92:95], a[134:135], a[38:39], v[92:95]// 000000004400: D3D7005C 1D724D86
	buffer_load_dword v69, s[20:23], 0 offen lds               // 000000004408: E0511000 80050045
	s_add_u32 m0, 0xc00, s49                                   // 000000004410: 807C31FF 00000C00
	v_mfma_i32_16x16x32_i8 v[120:123], a[136:137], a[32:33], v[120:123]// 000000004418: D3D70078 1DE24188
	v_mfma_i32_16x16x32_i8 v[120:123], a[138:139], a[34:35], v[120:123]// 000000004420: D3D70078 1DE2458A
	buffer_load_dword v70, s[20:23], 0 offen lds               // 000000004428: E0511000 80050046
	s_add_u32 m0, 0xd00, s49                                   // 000000004430: 807C31FF 00000D00
	v_mfma_i32_16x16x32_i8 v[120:123], a[140:141], a[36:37], v[120:123]// 000000004438: D3D70078 1DE2498C
	v_mfma_i32_16x16x32_i8 v[120:123], a[142:143], a[38:39], v[120:123]// 000000004440: D3D70078 1DE24D8E
	buffer_load_dword v71, s[20:23], 0 offen lds               // 000000004448: E0511000 80050047
	s_add_u32 m0, 0, s50                                       // 000000004450: 807C3280
	v_mfma_i32_16x16x32_i8 v[96:99], a[128:129], a[40:41], v[96:99]// 000000004454: D3D70060 1D825180
	v_mfma_i32_16x16x32_i8 v[96:99], a[130:131], a[42:43], v[96:99]// 00000000445C: D3D70060 1D825582
	v_mfma_i32_16x16x32_i8 v[96:99], a[132:133], a[44:45], v[96:99]// 000000004464: D3D70060 1D825984
	v_mfma_i32_16x16x32_i8 v[96:99], a[134:135], a[46:47], v[96:99]// 00000000446C: D3D70060 1D825D86
	v_mfma_i32_16x16x32_i8 v[124:127], a[136:137], a[40:41], v[124:127]// 000000004474: D3D7007C 1DF25188
	v_mfma_i32_16x16x32_i8 v[124:127], a[138:139], a[42:43], v[124:127]// 00000000447C: D3D7007C 1DF2558A
	v_mfma_i32_16x16x32_i8 v[124:127], a[140:141], a[44:45], v[124:127]// 000000004484: D3D7007C 1DF2598C
	v_mfma_i32_16x16x32_i8 v[124:127], a[142:143], a[46:47], v[124:127]// 00000000448C: D3D7007C 1DF25D8E
	v_mfma_i32_16x16x32_i8 v[100:103], a[128:129], a[48:49], v[100:103]// 000000004494: D3D70064 1D926180
	v_mfma_i32_16x16x32_i8 v[100:103], a[130:131], a[50:51], v[100:103]// 00000000449C: D3D70064 1D926582
	v_mfma_i32_16x16x32_i8 v[100:103], a[132:133], a[52:53], v[100:103]// 0000000044A4: D3D70064 1D926984
	v_mfma_i32_16x16x32_i8 v[100:103], a[134:135], a[54:55], v[100:103]// 0000000044AC: D3D70064 1D926D86
	v_mfma_i32_16x16x32_i8 v[128:131], a[136:137], a[48:49], v[128:131]// 0000000044B4: D3D70080 1E026188
	v_mfma_i32_16x16x32_i8 v[128:131], a[138:139], a[50:51], v[128:131]// 0000000044BC: D3D70080 1E02658A
	v_mfma_i32_16x16x32_i8 v[128:131], a[140:141], a[52:53], v[128:131]// 0000000044C4: D3D70080 1E02698C
	v_mfma_i32_16x16x32_i8 v[128:131], a[142:143], a[54:55], v[128:131]// 0000000044CC: D3D70080 1E026D8E
	s_waitcnt vmcnt(18)                                        // 0000000044D4: BF8C4F72
	s_barrier                                                  // 0000000044D8: BF8A0000
	v_mfma_i32_16x16x32_i8 v[132:135], a[144:145], a[0:1], v[132:135]// 0000000044DC: D3D70084 1E120190
	v_mfma_i32_16x16x32_i8 v[132:135], a[146:147], a[2:3], v[132:135]// 0000000044E4: D3D70084 1E120592
	buffer_load_dwordx4 a[128:131], v72, s[84:87], 0 offen     // 0000000044EC: E05C1000 80958048
	v_mfma_i32_16x16x32_i8 v[132:135], a[148:149], a[4:5], v[132:135]// 0000000044F4: D3D70084 1E120994
	v_mfma_i32_16x16x32_i8 v[132:135], a[150:151], a[6:7], v[132:135]// 0000000044FC: D3D70084 1E120D96
	ds_read_b128 a[56:59], v2                                  // 000000004504: DBFE0000 38000002
	ds_read_b128 a[60:63], v2 offset:64                        // 00000000450C: DBFE0040 3C000002
	v_mfma_i32_16x16x32_i8 v[160:163], a[152:153], a[0:1], v[160:163]// 000000004514: D3D700A0 1E820198
	v_mfma_i32_16x16x32_i8 v[160:163], a[154:155], a[2:3], v[160:163]// 00000000451C: D3D700A0 1E82059A
	buffer_load_dwordx4 a[132:135], v72, s[84:87], 0 offen offset:1024// 000000004524: E05C1400 80958448
	v_mfma_i32_16x16x32_i8 v[160:163], a[156:157], a[4:5], v[160:163]// 00000000452C: D3D700A0 1E82099C
	v_mfma_i32_16x16x32_i8 v[160:163], a[158:159], a[6:7], v[160:163]// 000000004534: D3D700A0 1E820D9E
	ds_read_b128 a[64:67], v2 offset:512                       // 00000000453C: DBFE0200 40000002
	ds_read_b128 a[68:71], v2 offset:576                       // 000000004544: DBFE0240 44000002
	v_mfma_i32_16x16x32_i8 v[136:139], a[144:145], a[8:9], v[136:139]// 00000000454C: D3D70088 1E221190
	v_mfma_i32_16x16x32_i8 v[136:139], a[146:147], a[10:11], v[136:139]// 000000004554: D3D70088 1E221592
	buffer_load_dwordx4 a[136:139], v73, s[84:87], 0 offen     // 00000000455C: E05C1000 80958849
	v_mfma_i32_16x16x32_i8 v[136:139], a[148:149], a[12:13], v[136:139]// 000000004564: D3D70088 1E221994
	v_mfma_i32_16x16x32_i8 v[136:139], a[150:151], a[14:15], v[136:139]// 00000000456C: D3D70088 1E221D96
	ds_read_b128 a[72:75], v2 offset:1024                      // 000000004574: DBFE0400 48000002
	ds_read_b128 a[76:79], v2 offset:1088                      // 00000000457C: DBFE0440 4C000002
	v_mfma_i32_16x16x32_i8 v[164:167], a[152:153], a[8:9], v[164:167]// 000000004584: D3D700A4 1E921198
	v_mfma_i32_16x16x32_i8 v[164:167], a[154:155], a[10:11], v[164:167]// 00000000458C: D3D700A4 1E92159A
	buffer_load_dwordx4 a[140:143], v73, s[84:87], 0 offen offset:1024// 000000004594: E05C1400 80958C49
	v_mfma_i32_16x16x32_i8 v[164:167], a[156:157], a[12:13], v[164:167]// 00000000459C: D3D700A4 1E92199C
	v_mfma_i32_16x16x32_i8 v[164:167], a[158:159], a[14:15], v[164:167]// 0000000045A4: D3D700A4 1E921D9E
	ds_read_b128 a[80:83], v2 offset:1536                      // 0000000045AC: DBFE0600 50000002
	ds_read_b128 a[84:87], v2 offset:1600                      // 0000000045B4: DBFE0640 54000002
	v_mfma_i32_16x16x32_i8 v[140:143], a[144:145], a[16:17], v[140:143]// 0000000045BC: D3D7008C 1E322190
	v_mfma_i32_16x16x32_i8 v[140:143], a[146:147], a[18:19], v[140:143]// 0000000045C4: D3D7008C 1E322592
	v_mfma_i32_16x16x32_i8 v[140:143], a[148:149], a[20:21], v[140:143]// 0000000045CC: D3D7008C 1E322994
	v_mfma_i32_16x16x32_i8 v[140:143], a[150:151], a[22:23], v[140:143]// 0000000045D4: D3D7008C 1E322D96
	ds_read_b128 a[88:91], v2 offset:2048                      // 0000000045DC: DBFE0800 58000002
	ds_read_b128 a[92:95], v2 offset:2112                      // 0000000045E4: DBFE0840 5C000002
	v_mfma_i32_16x16x32_i8 v[168:171], a[152:153], a[16:17], v[168:171]// 0000000045EC: D3D700A8 1EA22198
	v_mfma_i32_16x16x32_i8 v[168:171], a[154:155], a[18:19], v[168:171]// 0000000045F4: D3D700A8 1EA2259A
	v_mfma_i32_16x16x32_i8 v[168:171], a[156:157], a[20:21], v[168:171]// 0000000045FC: D3D700A8 1EA2299C
	v_mfma_i32_16x16x32_i8 v[168:171], a[158:159], a[22:23], v[168:171]// 000000004604: D3D700A8 1EA22D9E
	ds_read_b128 a[96:99], v2 offset:2560                      // 00000000460C: DBFE0A00 60000002
	ds_read_b128 a[100:103], v2 offset:2624                    // 000000004614: DBFE0A40 64000002
	v_mfma_i32_16x16x32_i8 v[144:147], a[144:145], a[24:25], v[144:147]// 00000000461C: D3D70090 1E423190
	v_mfma_i32_16x16x32_i8 v[144:147], a[146:147], a[26:27], v[144:147]// 000000004624: D3D70090 1E423592
	v_mfma_i32_16x16x32_i8 v[144:147], a[148:149], a[28:29], v[144:147]// 00000000462C: D3D70090 1E423994
	v_mfma_i32_16x16x32_i8 v[144:147], a[150:151], a[30:31], v[144:147]// 000000004634: D3D70090 1E423D96
	ds_read_b128 a[104:107], v2 offset:3072                    // 00000000463C: DBFE0C00 68000002
	ds_read_b128 a[108:111], v2 offset:3136                    // 000000004644: DBFE0C40 6C000002
	v_mfma_i32_16x16x32_i8 v[172:175], a[152:153], a[24:25], v[172:175]// 00000000464C: D3D700AC 1EB23198
	v_mfma_i32_16x16x32_i8 v[172:175], a[154:155], a[26:27], v[172:175]// 000000004654: D3D700AC 1EB2359A
	v_mfma_i32_16x16x32_i8 v[172:175], a[156:157], a[28:29], v[172:175]// 00000000465C: D3D700AC 1EB2399C
	v_mfma_i32_16x16x32_i8 v[172:175], a[158:159], a[30:31], v[172:175]// 000000004664: D3D700AC 1EB23D9E
	v_mfma_i32_16x16x32_i8 v[148:151], a[144:145], a[32:33], v[148:151]// 00000000466C: D3D70094 1E524190
	v_mfma_i32_16x16x32_i8 v[148:151], a[146:147], a[34:35], v[148:151]// 000000004674: D3D70094 1E524592
	v_mfma_i32_16x16x32_i8 v[148:151], a[148:149], a[36:37], v[148:151]// 00000000467C: D3D70094 1E524994
	v_mfma_i32_16x16x32_i8 v[148:151], a[150:151], a[38:39], v[148:151]// 000000004684: D3D70094 1E524D96
	v_mfma_i32_16x16x32_i8 v[176:179], a[152:153], a[32:33], v[176:179]// 00000000468C: D3D700B0 1EC24198
	v_mfma_i32_16x16x32_i8 v[176:179], a[154:155], a[34:35], v[176:179]// 000000004694: D3D700B0 1EC2459A
	v_mfma_i32_16x16x32_i8 v[176:179], a[156:157], a[36:37], v[176:179]// 00000000469C: D3D700B0 1EC2499C
	v_mfma_i32_16x16x32_i8 v[176:179], a[158:159], a[38:39], v[176:179]// 0000000046A4: D3D700B0 1EC24D9E
	v_mfma_i32_16x16x32_i8 v[152:155], a[144:145], a[40:41], v[152:155]// 0000000046AC: D3D70098 1E625190
	v_mfma_i32_16x16x32_i8 v[152:155], a[146:147], a[42:43], v[152:155]// 0000000046B4: D3D70098 1E625592
	v_mfma_i32_16x16x32_i8 v[152:155], a[148:149], a[44:45], v[152:155]// 0000000046BC: D3D70098 1E625994
	v_mfma_i32_16x16x32_i8 v[152:155], a[150:151], a[46:47], v[152:155]// 0000000046C4: D3D70098 1E625D96
	v_mfma_i32_16x16x32_i8 v[180:183], a[152:153], a[40:41], v[180:183]// 0000000046CC: D3D700B4 1ED25198
	v_mfma_i32_16x16x32_i8 v[180:183], a[154:155], a[42:43], v[180:183]// 0000000046D4: D3D700B4 1ED2559A
	v_mfma_i32_16x16x32_i8 v[180:183], a[156:157], a[44:45], v[180:183]// 0000000046DC: D3D700B4 1ED2599C
	v_mfma_i32_16x16x32_i8 v[180:183], a[158:159], a[46:47], v[180:183]// 0000000046E4: D3D700B4 1ED25D9E
	v_mfma_i32_16x16x32_i8 v[156:159], a[144:145], a[48:49], v[156:159]// 0000000046EC: D3D7009C 1E726190
	s_add_u32 s60, 0x180, s80                                  // 0000000046F4: 803C50FF 00000180
	s_cmp_lt_u32 s60, s81                                      // 0000000046FC: BF0A513C
	s_cselect_b32 s57, s57, 0                                  // 000000004700: 85398039
	v_mfma_i32_16x16x32_i8 v[156:159], a[146:147], a[50:51], v[156:159]// 000000004704: D3D7009C 1E726592
	s_add_u32 s60, 0x100, s80                                  // 00000000470C: 803C50FF 00000100
	s_cmp_lt_u32 s60, s81                                      // 000000004714: BF0A513C
	s_cselect_b32 s58, s58, 0                                  // 000000004718: 853A803A
	v_mfma_i32_16x16x32_i8 v[156:159], a[148:149], a[52:53], v[156:159]// 00000000471C: D3D7009C 1E726994
	s_add_u32 s60, 0x100, s80                                  // 000000004724: 803C50FF 00000100
	s_cmp_lt_u32 s60, s81                                      // 00000000472C: BF0A513C
	s_cselect_b32 s83, s83, 0                                  // 000000004730: 85538053
	v_mfma_i32_16x16x32_i8 v[156:159], a[150:151], a[54:55], v[156:159]// 000000004734: D3D7009C 1E726D96
	s_add_u32 s24, s58, s24                                    // 00000000473C: 8018183A
	s_addc_u32 s25, 0, s25                                     // 000000004740: 82191980
	v_mfma_i32_16x16x32_i8 v[184:187], a[152:153], a[48:49], v[184:187]// 000000004744: D3D700B8 1EE26198
	s_add_u32 s20, s57, s20                                    // 00000000474C: 80141439
	s_addc_u32 s21, 0, s21                                     // 000000004750: 82151580
	v_mfma_i32_16x16x32_i8 v[184:187], a[154:155], a[50:51], v[184:187]// 000000004754: D3D700B8 1EE2659A
	s_add_u32 s84, s83, s84                                    // 00000000475C: 80545453
	s_addc_u32 s85, 0, s85                                     // 000000004760: 82555580
	v_mfma_i32_16x16x32_i8 v[184:187], a[156:157], a[52:53], v[184:187]// 000000004764: D3D700B8 1EE2699C
	v_mfma_i32_16x16x32_i8 v[184:187], a[158:159], a[54:55], v[184:187]// 00000000476C: D3D700B8 1EE26D9E
	s_addk_i32 s80, 0x80                                       // 000000004774: B7500080
	s_cmp_lt_i32 s80, s81                                      // 000000004778: BF045150
	s_cbranch_scc0 label_0B72                                  // 00000000477C: BF840412
	s_waitcnt vmcnt(18) lgkmcnt(0)                             // 000000004780: BF8C4072
	v_mfma_i32_16x16x32_i8 v[76:79], a[112:113], a[56:57], v[76:79]// 000000004784: D3D7004C 1D327170
	v_mfma_i32_16x16x32_i8 v[76:79], a[114:115], a[58:59], v[76:79]// 00000000478C: D3D7004C 1D327572
	buffer_load_dwordx4 a[144:147], v72, s[24:27], 0 offen     // 000000004794: E05C1000 80869048
	v_mfma_i32_16x16x32_i8 v[76:79], a[116:117], a[60:61], v[76:79]// 00000000479C: D3D7004C 1D327974
	v_mfma_i32_16x16x32_i8 v[76:79], a[118:119], a[62:63], v[76:79]// 0000000047A4: D3D7004C 1D327D76
	v_mfma_i32_16x16x32_i8 v[104:107], a[120:121], a[56:57], v[104:107]// 0000000047AC: D3D70068 1DA27178
	v_mfma_i32_16x16x32_i8 v[104:107], a[122:123], a[58:59], v[104:107]// 0000000047B4: D3D70068 1DA2757A
	buffer_load_dwordx4 a[148:151], v72, s[24:27], 0 offen offset:1024// 0000000047BC: E05C1400 80869448
	v_mfma_i32_16x16x32_i8 v[104:107], a[124:125], a[60:61], v[104:107]// 0000000047C4: D3D70068 1DA2797C
	v_mfma_i32_16x16x32_i8 v[104:107], a[126:127], a[62:63], v[104:107]// 0000000047CC: D3D70068 1DA27D7E
	v_mfma_i32_16x16x32_i8 v[80:83], a[112:113], a[64:65], v[80:83]// 0000000047D4: D3D70050 1D428170
	v_mfma_i32_16x16x32_i8 v[80:83], a[114:115], a[66:67], v[80:83]// 0000000047DC: D3D70050 1D428572
	buffer_load_dwordx4 a[152:155], v73, s[24:27], 0 offen     // 0000000047E4: E05C1000 80869849
	v_mfma_i32_16x16x32_i8 v[80:83], a[116:117], a[68:69], v[80:83]// 0000000047EC: D3D70050 1D428974
	v_mfma_i32_16x16x32_i8 v[80:83], a[118:119], a[70:71], v[80:83]// 0000000047F4: D3D70050 1D428D76
	v_mfma_i32_16x16x32_i8 v[108:111], a[120:121], a[64:65], v[108:111]// 0000000047FC: D3D7006C 1DB28178
	v_mfma_i32_16x16x32_i8 v[108:111], a[122:123], a[66:67], v[108:111]// 000000004804: D3D7006C 1DB2857A
	buffer_load_dwordx4 a[156:159], v73, s[24:27], 0 offen offset:1024// 00000000480C: E05C1400 80869C49
	buffer_load_dword v58, s[20:23], 0 offen lds               // 000000004814: E0511000 8005003A
	s_add_u32 m0, 0x100, s50                                   // 00000000481C: 807C32FF 00000100
	v_mfma_i32_16x16x32_i8 v[108:111], a[124:125], a[68:69], v[108:111]// 000000004824: D3D7006C 1DB2897C
	v_mfma_i32_16x16x32_i8 v[108:111], a[126:127], a[70:71], v[108:111]// 00000000482C: D3D7006C 1DB28D7E
	buffer_load_dword v59, s[20:23], 0 offen lds               // 000000004834: E0511000 8005003B
	s_add_u32 m0, 0x200, s50                                   // 00000000483C: 807C32FF 00000200
	v_mfma_i32_16x16x32_i8 v[84:87], a[112:113], a[72:73], v[84:87]// 000000004844: D3D70054 1D529170
	v_mfma_i32_16x16x32_i8 v[84:87], a[114:115], a[74:75], v[84:87]// 00000000484C: D3D70054 1D529572
	buffer_load_dword v60, s[20:23], 0 offen lds               // 000000004854: E0511000 8005003C
	s_add_u32 m0, 0x300, s50                                   // 00000000485C: 807C32FF 00000300
	v_mfma_i32_16x16x32_i8 v[84:87], a[116:117], a[76:77], v[84:87]// 000000004864: D3D70054 1D529974
	v_mfma_i32_16x16x32_i8 v[84:87], a[118:119], a[78:79], v[84:87]// 00000000486C: D3D70054 1D529D76
	buffer_load_dword v61, s[20:23], 0 offen lds               // 000000004874: E0511000 8005003D
	s_add_u32 m0, 0x400, s50                                   // 00000000487C: 807C32FF 00000400
	v_mfma_i32_16x16x32_i8 v[112:115], a[120:121], a[72:73], v[112:115]// 000000004884: D3D70070 1DC29178
	v_mfma_i32_16x16x32_i8 v[112:115], a[122:123], a[74:75], v[112:115]// 00000000488C: D3D70070 1DC2957A
	buffer_load_dword v62, s[20:23], 0 offen lds               // 000000004894: E0511000 8005003E
	s_add_u32 m0, 0x500, s50                                   // 00000000489C: 807C32FF 00000500
	v_mfma_i32_16x16x32_i8 v[112:115], a[124:125], a[76:77], v[112:115]// 0000000048A4: D3D70070 1DC2997C
	v_mfma_i32_16x16x32_i8 v[112:115], a[126:127], a[78:79], v[112:115]// 0000000048AC: D3D70070 1DC29D7E
	buffer_load_dword v63, s[20:23], 0 offen lds               // 0000000048B4: E0511000 8005003F
	s_add_u32 m0, 0x600, s50                                   // 0000000048BC: 807C32FF 00000600
	v_mfma_i32_16x16x32_i8 v[88:91], a[112:113], a[80:81], v[88:91]// 0000000048C4: D3D70058 1D62A170
	v_mfma_i32_16x16x32_i8 v[88:91], a[114:115], a[82:83], v[88:91]// 0000000048CC: D3D70058 1D62A572
	buffer_load_dword v64, s[20:23], 0 offen lds               // 0000000048D4: E0511000 80050040
	s_add_u32 m0, 0x700, s50                                   // 0000000048DC: 807C32FF 00000700
	v_mfma_i32_16x16x32_i8 v[88:91], a[116:117], a[84:85], v[88:91]// 0000000048E4: D3D70058 1D62A974
	v_mfma_i32_16x16x32_i8 v[88:91], a[118:119], a[86:87], v[88:91]// 0000000048EC: D3D70058 1D62AD76
	buffer_load_dword v65, s[20:23], 0 offen lds               // 0000000048F4: E0511000 80050041
	s_add_u32 m0, 0x800, s50                                   // 0000000048FC: 807C32FF 00000800
	v_mfma_i32_16x16x32_i8 v[116:119], a[120:121], a[80:81], v[116:119]// 000000004904: D3D70074 1DD2A178
	v_mfma_i32_16x16x32_i8 v[116:119], a[122:123], a[82:83], v[116:119]// 00000000490C: D3D70074 1DD2A57A
	buffer_load_dword v66, s[20:23], 0 offen lds               // 000000004914: E0511000 80050042
	s_add_u32 m0, 0x900, s50                                   // 00000000491C: 807C32FF 00000900
	v_mfma_i32_16x16x32_i8 v[116:119], a[124:125], a[84:85], v[116:119]// 000000004924: D3D70074 1DD2A97C
	v_mfma_i32_16x16x32_i8 v[116:119], a[126:127], a[86:87], v[116:119]// 00000000492C: D3D70074 1DD2AD7E
	buffer_load_dword v67, s[20:23], 0 offen lds               // 000000004934: E0511000 80050043
	s_add_u32 m0, 0xa00, s50                                   // 00000000493C: 807C32FF 00000A00
	v_mfma_i32_16x16x32_i8 v[92:95], a[112:113], a[88:89], v[92:95]// 000000004944: D3D7005C 1D72B170
	v_mfma_i32_16x16x32_i8 v[92:95], a[114:115], a[90:91], v[92:95]// 00000000494C: D3D7005C 1D72B572
	buffer_load_dword v68, s[20:23], 0 offen lds               // 000000004954: E0511000 80050044
	s_add_u32 m0, 0xb00, s50                                   // 00000000495C: 807C32FF 00000B00
	v_mfma_i32_16x16x32_i8 v[92:95], a[116:117], a[92:93], v[92:95]// 000000004964: D3D7005C 1D72B974
	v_mfma_i32_16x16x32_i8 v[92:95], a[118:119], a[94:95], v[92:95]// 00000000496C: D3D7005C 1D72BD76
	buffer_load_dword v69, s[20:23], 0 offen lds               // 000000004974: E0511000 80050045
	s_add_u32 m0, 0xc00, s50                                   // 00000000497C: 807C32FF 00000C00
	v_mfma_i32_16x16x32_i8 v[120:123], a[120:121], a[88:89], v[120:123]// 000000004984: D3D70078 1DE2B178
	v_mfma_i32_16x16x32_i8 v[120:123], a[122:123], a[90:91], v[120:123]// 00000000498C: D3D70078 1DE2B57A
	buffer_load_dword v70, s[20:23], 0 offen lds               // 000000004994: E0511000 80050046
	s_add_u32 m0, 0xd00, s50                                   // 00000000499C: 807C32FF 00000D00
	v_mfma_i32_16x16x32_i8 v[120:123], a[124:125], a[92:93], v[120:123]// 0000000049A4: D3D70078 1DE2B97C
	v_mfma_i32_16x16x32_i8 v[120:123], a[126:127], a[94:95], v[120:123]// 0000000049AC: D3D70078 1DE2BD7E
	buffer_load_dword v71, s[20:23], 0 offen lds               // 0000000049B4: E0511000 80050047
	s_add_u32 m0, 0, s48                                       // 0000000049BC: 807C3080
	v_mfma_i32_16x16x32_i8 v[96:99], a[112:113], a[96:97], v[96:99]// 0000000049C0: D3D70060 1D82C170
	v_mfma_i32_16x16x32_i8 v[96:99], a[114:115], a[98:99], v[96:99]// 0000000049C8: D3D70060 1D82C572
	v_mfma_i32_16x16x32_i8 v[96:99], a[116:117], a[100:101], v[96:99]// 0000000049D0: D3D70060 1D82C974
	v_mfma_i32_16x16x32_i8 v[96:99], a[118:119], a[102:103], v[96:99]// 0000000049D8: D3D70060 1D82CD76
	v_mfma_i32_16x16x32_i8 v[124:127], a[120:121], a[96:97], v[124:127]// 0000000049E0: D3D7007C 1DF2C178
	v_mfma_i32_16x16x32_i8 v[124:127], a[122:123], a[98:99], v[124:127]// 0000000049E8: D3D7007C 1DF2C57A
	v_mfma_i32_16x16x32_i8 v[124:127], a[124:125], a[100:101], v[124:127]// 0000000049F0: D3D7007C 1DF2C97C
	v_mfma_i32_16x16x32_i8 v[124:127], a[126:127], a[102:103], v[124:127]// 0000000049F8: D3D7007C 1DF2CD7E
	v_mfma_i32_16x16x32_i8 v[100:103], a[112:113], a[104:105], v[100:103]// 000000004A00: D3D70064 1D92D170
	v_mfma_i32_16x16x32_i8 v[100:103], a[114:115], a[106:107], v[100:103]// 000000004A08: D3D70064 1D92D572
	v_mfma_i32_16x16x32_i8 v[100:103], a[116:117], a[108:109], v[100:103]// 000000004A10: D3D70064 1D92D974
	v_mfma_i32_16x16x32_i8 v[100:103], a[118:119], a[110:111], v[100:103]// 000000004A18: D3D70064 1D92DD76
	v_mfma_i32_16x16x32_i8 v[128:131], a[120:121], a[104:105], v[128:131]// 000000004A20: D3D70080 1E02D178
	v_mfma_i32_16x16x32_i8 v[128:131], a[122:123], a[106:107], v[128:131]// 000000004A28: D3D70080 1E02D57A
	v_mfma_i32_16x16x32_i8 v[128:131], a[124:125], a[108:109], v[128:131]// 000000004A30: D3D70080 1E02D97C
	v_mfma_i32_16x16x32_i8 v[128:131], a[126:127], a[110:111], v[128:131]// 000000004A38: D3D70080 1E02DD7E
	s_waitcnt vmcnt(18)                                        // 000000004A40: BF8C4F72
	s_barrier                                                  // 000000004A44: BF8A0000
	v_mfma_i32_16x16x32_i8 v[132:135], a[128:129], a[56:57], v[132:135]// 000000004A48: D3D70084 1E127180
	v_mfma_i32_16x16x32_i8 v[132:135], a[130:131], a[58:59], v[132:135]// 000000004A50: D3D70084 1E127582
	buffer_load_dwordx4 a[112:115], v72, s[84:87], 0 offen     // 000000004A58: E05C1000 80957048
	v_mfma_i32_16x16x32_i8 v[132:135], a[132:133], a[60:61], v[132:135]// 000000004A60: D3D70084 1E127984
	v_mfma_i32_16x16x32_i8 v[132:135], a[134:135], a[62:63], v[132:135]// 000000004A68: D3D70084 1E127D86
	ds_read_b128 a[0:3], v2 offset:14464                       // 000000004A70: DBFE3880 00000002
	ds_read_b128 a[4:7], v2 offset:14528                       // 000000004A78: DBFE38C0 04000002
	v_mfma_i32_16x16x32_i8 v[160:163], a[136:137], a[56:57], v[160:163]// 000000004A80: D3D700A0 1E827188
	v_mfma_i32_16x16x32_i8 v[160:163], a[138:139], a[58:59], v[160:163]// 000000004A88: D3D700A0 1E82758A
	buffer_load_dwordx4 a[116:119], v72, s[84:87], 0 offen offset:1024// 000000004A90: E05C1400 80957448
	v_mfma_i32_16x16x32_i8 v[160:163], a[140:141], a[60:61], v[160:163]// 000000004A98: D3D700A0 1E82798C
	v_mfma_i32_16x16x32_i8 v[160:163], a[142:143], a[62:63], v[160:163]// 000000004AA0: D3D700A0 1E827D8E
	ds_read_b128 a[8:11], v2 offset:14976                      // 000000004AA8: DBFE3A80 08000002
	ds_read_b128 a[12:15], v2 offset:15040                     // 000000004AB0: DBFE3AC0 0C000002
	v_mfma_i32_16x16x32_i8 v[136:139], a[128:129], a[64:65], v[136:139]// 000000004AB8: D3D70088 1E228180
	v_mfma_i32_16x16x32_i8 v[136:139], a[130:131], a[66:67], v[136:139]// 000000004AC0: D3D70088 1E228582
	buffer_load_dwordx4 a[120:123], v73, s[84:87], 0 offen     // 000000004AC8: E05C1000 80957849
	v_mfma_i32_16x16x32_i8 v[136:139], a[132:133], a[68:69], v[136:139]// 000000004AD0: D3D70088 1E228984
	v_mfma_i32_16x16x32_i8 v[136:139], a[134:135], a[70:71], v[136:139]// 000000004AD8: D3D70088 1E228D86
	ds_read_b128 a[16:19], v2 offset:15488                     // 000000004AE0: DBFE3C80 10000002
	ds_read_b128 a[20:23], v2 offset:15552                     // 000000004AE8: DBFE3CC0 14000002
	v_mfma_i32_16x16x32_i8 v[164:167], a[136:137], a[64:65], v[164:167]// 000000004AF0: D3D700A4 1E928188
	v_mfma_i32_16x16x32_i8 v[164:167], a[138:139], a[66:67], v[164:167]// 000000004AF8: D3D700A4 1E92858A
	buffer_load_dwordx4 a[124:127], v73, s[84:87], 0 offen offset:1024// 000000004B00: E05C1400 80957C49
	v_mfma_i32_16x16x32_i8 v[164:167], a[140:141], a[68:69], v[164:167]// 000000004B08: D3D700A4 1E92898C
	v_mfma_i32_16x16x32_i8 v[164:167], a[142:143], a[70:71], v[164:167]// 000000004B10: D3D700A4 1E928D8E
	ds_read_b128 a[24:27], v2 offset:16000                     // 000000004B18: DBFE3E80 18000002
	ds_read_b128 a[28:31], v2 offset:16064                     // 000000004B20: DBFE3EC0 1C000002
	v_mfma_i32_16x16x32_i8 v[140:143], a[128:129], a[72:73], v[140:143]// 000000004B28: D3D7008C 1E329180
	v_mfma_i32_16x16x32_i8 v[140:143], a[130:131], a[74:75], v[140:143]// 000000004B30: D3D7008C 1E329582
	v_mfma_i32_16x16x32_i8 v[140:143], a[132:133], a[76:77], v[140:143]// 000000004B38: D3D7008C 1E329984
	v_mfma_i32_16x16x32_i8 v[140:143], a[134:135], a[78:79], v[140:143]// 000000004B40: D3D7008C 1E329D86
	ds_read_b128 a[32:35], v2 offset:16512                     // 000000004B48: DBFE4080 20000002
	ds_read_b128 a[36:39], v2 offset:16576                     // 000000004B50: DBFE40C0 24000002
	v_mfma_i32_16x16x32_i8 v[168:171], a[136:137], a[72:73], v[168:171]// 000000004B58: D3D700A8 1EA29188
	v_mfma_i32_16x16x32_i8 v[168:171], a[138:139], a[74:75], v[168:171]// 000000004B60: D3D700A8 1EA2958A
	v_mfma_i32_16x16x32_i8 v[168:171], a[140:141], a[76:77], v[168:171]// 000000004B68: D3D700A8 1EA2998C
	v_mfma_i32_16x16x32_i8 v[168:171], a[142:143], a[78:79], v[168:171]// 000000004B70: D3D700A8 1EA29D8E
	ds_read_b128 a[40:43], v2 offset:17024                     // 000000004B78: DBFE4280 28000002
	ds_read_b128 a[44:47], v2 offset:17088                     // 000000004B80: DBFE42C0 2C000002
	v_mfma_i32_16x16x32_i8 v[144:147], a[128:129], a[80:81], v[144:147]// 000000004B88: D3D70090 1E42A180
	v_mfma_i32_16x16x32_i8 v[144:147], a[130:131], a[82:83], v[144:147]// 000000004B90: D3D70090 1E42A582
	v_mfma_i32_16x16x32_i8 v[144:147], a[132:133], a[84:85], v[144:147]// 000000004B98: D3D70090 1E42A984
	v_mfma_i32_16x16x32_i8 v[144:147], a[134:135], a[86:87], v[144:147]// 000000004BA0: D3D70090 1E42AD86
	ds_read_b128 a[48:51], v2 offset:17536                     // 000000004BA8: DBFE4480 30000002
	ds_read_b128 a[52:55], v2 offset:17600                     // 000000004BB0: DBFE44C0 34000002
	v_mfma_i32_16x16x32_i8 v[172:175], a[136:137], a[80:81], v[172:175]// 000000004BB8: D3D700AC 1EB2A188
	v_mfma_i32_16x16x32_i8 v[172:175], a[138:139], a[82:83], v[172:175]// 000000004BC0: D3D700AC 1EB2A58A
	v_mfma_i32_16x16x32_i8 v[172:175], a[140:141], a[84:85], v[172:175]// 000000004BC8: D3D700AC 1EB2A98C
	v_mfma_i32_16x16x32_i8 v[172:175], a[142:143], a[86:87], v[172:175]// 000000004BD0: D3D700AC 1EB2AD8E
	v_mfma_i32_16x16x32_i8 v[148:151], a[128:129], a[88:89], v[148:151]// 000000004BD8: D3D70094 1E52B180
	v_mfma_i32_16x16x32_i8 v[148:151], a[130:131], a[90:91], v[148:151]// 000000004BE0: D3D70094 1E52B582
	v_mfma_i32_16x16x32_i8 v[148:151], a[132:133], a[92:93], v[148:151]// 000000004BE8: D3D70094 1E52B984
	v_mfma_i32_16x16x32_i8 v[148:151], a[134:135], a[94:95], v[148:151]// 000000004BF0: D3D70094 1E52BD86
	v_mfma_i32_16x16x32_i8 v[176:179], a[136:137], a[88:89], v[176:179]// 000000004BF8: D3D700B0 1EC2B188
	v_mfma_i32_16x16x32_i8 v[176:179], a[138:139], a[90:91], v[176:179]// 000000004C00: D3D700B0 1EC2B58A
	v_mfma_i32_16x16x32_i8 v[176:179], a[140:141], a[92:93], v[176:179]// 000000004C08: D3D700B0 1EC2B98C
	v_mfma_i32_16x16x32_i8 v[176:179], a[142:143], a[94:95], v[176:179]// 000000004C10: D3D700B0 1EC2BD8E
	v_mfma_i32_16x16x32_i8 v[152:155], a[128:129], a[96:97], v[152:155]// 000000004C18: D3D70098 1E62C180
	v_mfma_i32_16x16x32_i8 v[152:155], a[130:131], a[98:99], v[152:155]// 000000004C20: D3D70098 1E62C582
	v_mfma_i32_16x16x32_i8 v[152:155], a[132:133], a[100:101], v[152:155]// 000000004C28: D3D70098 1E62C984
	v_mfma_i32_16x16x32_i8 v[152:155], a[134:135], a[102:103], v[152:155]// 000000004C30: D3D70098 1E62CD86
	v_mfma_i32_16x16x32_i8 v[180:183], a[136:137], a[96:97], v[180:183]// 000000004C38: D3D700B4 1ED2C188
	v_mfma_i32_16x16x32_i8 v[180:183], a[138:139], a[98:99], v[180:183]// 000000004C40: D3D700B4 1ED2C58A
	v_mfma_i32_16x16x32_i8 v[180:183], a[140:141], a[100:101], v[180:183]// 000000004C48: D3D700B4 1ED2C98C
	v_mfma_i32_16x16x32_i8 v[180:183], a[142:143], a[102:103], v[180:183]// 000000004C50: D3D700B4 1ED2CD8E
	v_mfma_i32_16x16x32_i8 v[156:159], a[128:129], a[104:105], v[156:159]// 000000004C58: D3D7009C 1E72D180
	s_add_u32 s60, 0x180, s80                                  // 000000004C60: 803C50FF 00000180
	s_cmp_lt_u32 s60, s81                                      // 000000004C68: BF0A513C
	s_cselect_b32 s57, s57, 0                                  // 000000004C6C: 85398039
	v_mfma_i32_16x16x32_i8 v[156:159], a[130:131], a[106:107], v[156:159]// 000000004C70: D3D7009C 1E72D582
	s_add_u32 s60, 0x100, s80                                  // 000000004C78: 803C50FF 00000100
	s_cmp_lt_u32 s60, s81                                      // 000000004C80: BF0A513C
	s_cselect_b32 s58, s58, 0                                  // 000000004C84: 853A803A
	v_mfma_i32_16x16x32_i8 v[156:159], a[132:133], a[108:109], v[156:159]// 000000004C88: D3D7009C 1E72D984
	s_add_u32 s60, 0x100, s80                                  // 000000004C90: 803C50FF 00000100
	s_cmp_lt_u32 s60, s81                                      // 000000004C98: BF0A513C
	s_cselect_b32 s83, s83, 0                                  // 000000004C9C: 85538053
	v_mfma_i32_16x16x32_i8 v[156:159], a[134:135], a[110:111], v[156:159]// 000000004CA0: D3D7009C 1E72DD86
	s_add_u32 s24, s58, s24                                    // 000000004CA8: 8018183A
	s_addc_u32 s25, 0, s25                                     // 000000004CAC: 82191980
	v_mfma_i32_16x16x32_i8 v[184:187], a[136:137], a[104:105], v[184:187]// 000000004CB0: D3D700B8 1EE2D188
	s_add_u32 s20, s57, s20                                    // 000000004CB8: 80141439
	s_addc_u32 s21, 0, s21                                     // 000000004CBC: 82151580
	v_mfma_i32_16x16x32_i8 v[184:187], a[138:139], a[106:107], v[184:187]// 000000004CC0: D3D700B8 1EE2D58A
	s_add_u32 s84, s83, s84                                    // 000000004CC8: 80545453
	s_addc_u32 s85, 0, s85                                     // 000000004CCC: 82555580
	v_mfma_i32_16x16x32_i8 v[184:187], a[140:141], a[108:109], v[184:187]// 000000004CD0: D3D700B8 1EE2D98C
	v_mfma_i32_16x16x32_i8 v[184:187], a[142:143], a[110:111], v[184:187]// 000000004CD8: D3D700B8 1EE2DD8E
	s_addk_i32 s80, 0x80                                       // 000000004CE0: B7500080
	s_cmp_lt_i32 s80, s81                                      // 000000004CE4: BF045150
	s_cbranch_scc0 label_0B72                                  // 000000004CE8: BF8402B7
	s_waitcnt vmcnt(18) lgkmcnt(0)                             // 000000004CEC: BF8C4072
	v_mfma_i32_16x16x32_i8 v[76:79], a[144:145], a[0:1], v[76:79]// 000000004CF0: D3D7004C 1D320190
	v_mfma_i32_16x16x32_i8 v[76:79], a[146:147], a[2:3], v[76:79]// 000000004CF8: D3D7004C 1D320592
	buffer_load_dwordx4 a[128:131], v72, s[24:27], 0 offen     // 000000004D00: E05C1000 80868048
	v_mfma_i32_16x16x32_i8 v[76:79], a[148:149], a[4:5], v[76:79]// 000000004D08: D3D7004C 1D320994
	v_mfma_i32_16x16x32_i8 v[76:79], a[150:151], a[6:7], v[76:79]// 000000004D10: D3D7004C 1D320D96
	v_mfma_i32_16x16x32_i8 v[104:107], a[152:153], a[0:1], v[104:107]// 000000004D18: D3D70068 1DA20198
	v_mfma_i32_16x16x32_i8 v[104:107], a[154:155], a[2:3], v[104:107]// 000000004D20: D3D70068 1DA2059A
	buffer_load_dwordx4 a[132:135], v72, s[24:27], 0 offen offset:1024// 000000004D28: E05C1400 80868448
	v_mfma_i32_16x16x32_i8 v[104:107], a[156:157], a[4:5], v[104:107]// 000000004D30: D3D70068 1DA2099C
	v_mfma_i32_16x16x32_i8 v[104:107], a[158:159], a[6:7], v[104:107]// 000000004D38: D3D70068 1DA20D9E
	v_mfma_i32_16x16x32_i8 v[80:83], a[144:145], a[8:9], v[80:83]// 000000004D40: D3D70050 1D421190
	v_mfma_i32_16x16x32_i8 v[80:83], a[146:147], a[10:11], v[80:83]// 000000004D48: D3D70050 1D421592
	buffer_load_dwordx4 a[136:139], v73, s[24:27], 0 offen     // 000000004D50: E05C1000 80868849
	v_mfma_i32_16x16x32_i8 v[80:83], a[148:149], a[12:13], v[80:83]// 000000004D58: D3D70050 1D421994
	v_mfma_i32_16x16x32_i8 v[80:83], a[150:151], a[14:15], v[80:83]// 000000004D60: D3D70050 1D421D96
	v_mfma_i32_16x16x32_i8 v[108:111], a[152:153], a[8:9], v[108:111]// 000000004D68: D3D7006C 1DB21198
	v_mfma_i32_16x16x32_i8 v[108:111], a[154:155], a[10:11], v[108:111]// 000000004D70: D3D7006C 1DB2159A
	buffer_load_dwordx4 a[140:143], v73, s[24:27], 0 offen offset:1024// 000000004D78: E05C1400 80868C49
	buffer_load_dword v58, s[20:23], 0 offen lds               // 000000004D80: E0511000 8005003A
	s_add_u32 m0, 0x100, s48                                   // 000000004D88: 807C30FF 00000100
	v_mfma_i32_16x16x32_i8 v[108:111], a[156:157], a[12:13], v[108:111]// 000000004D90: D3D7006C 1DB2199C
	v_mfma_i32_16x16x32_i8 v[108:111], a[158:159], a[14:15], v[108:111]// 000000004D98: D3D7006C 1DB21D9E
	buffer_load_dword v59, s[20:23], 0 offen lds               // 000000004DA0: E0511000 8005003B
	s_add_u32 m0, 0x200, s48                                   // 000000004DA8: 807C30FF 00000200
	v_mfma_i32_16x16x32_i8 v[84:87], a[144:145], a[16:17], v[84:87]// 000000004DB0: D3D70054 1D522190
	v_mfma_i32_16x16x32_i8 v[84:87], a[146:147], a[18:19], v[84:87]// 000000004DB8: D3D70054 1D522592
	buffer_load_dword v60, s[20:23], 0 offen lds               // 000000004DC0: E0511000 8005003C
	s_add_u32 m0, 0x300, s48                                   // 000000004DC8: 807C30FF 00000300
	v_mfma_i32_16x16x32_i8 v[84:87], a[148:149], a[20:21], v[84:87]// 000000004DD0: D3D70054 1D522994
	v_mfma_i32_16x16x32_i8 v[84:87], a[150:151], a[22:23], v[84:87]// 000000004DD8: D3D70054 1D522D96
	buffer_load_dword v61, s[20:23], 0 offen lds               // 000000004DE0: E0511000 8005003D
	s_add_u32 m0, 0x400, s48                                   // 000000004DE8: 807C30FF 00000400
	v_mfma_i32_16x16x32_i8 v[112:115], a[152:153], a[16:17], v[112:115]// 000000004DF0: D3D70070 1DC22198
	v_mfma_i32_16x16x32_i8 v[112:115], a[154:155], a[18:19], v[112:115]// 000000004DF8: D3D70070 1DC2259A
	buffer_load_dword v62, s[20:23], 0 offen lds               // 000000004E00: E0511000 8005003E
	s_add_u32 m0, 0x500, s48                                   // 000000004E08: 807C30FF 00000500
	v_mfma_i32_16x16x32_i8 v[112:115], a[156:157], a[20:21], v[112:115]// 000000004E10: D3D70070 1DC2299C
	v_mfma_i32_16x16x32_i8 v[112:115], a[158:159], a[22:23], v[112:115]// 000000004E18: D3D70070 1DC22D9E
	buffer_load_dword v63, s[20:23], 0 offen lds               // 000000004E20: E0511000 8005003F
	s_add_u32 m0, 0x600, s48                                   // 000000004E28: 807C30FF 00000600
	v_mfma_i32_16x16x32_i8 v[88:91], a[144:145], a[24:25], v[88:91]// 000000004E30: D3D70058 1D623190
	v_mfma_i32_16x16x32_i8 v[88:91], a[146:147], a[26:27], v[88:91]// 000000004E38: D3D70058 1D623592
	buffer_load_dword v64, s[20:23], 0 offen lds               // 000000004E40: E0511000 80050040
	s_add_u32 m0, 0x700, s48                                   // 000000004E48: 807C30FF 00000700
	v_mfma_i32_16x16x32_i8 v[88:91], a[148:149], a[28:29], v[88:91]// 000000004E50: D3D70058 1D623994
	v_mfma_i32_16x16x32_i8 v[88:91], a[150:151], a[30:31], v[88:91]// 000000004E58: D3D70058 1D623D96
	buffer_load_dword v65, s[20:23], 0 offen lds               // 000000004E60: E0511000 80050041
	s_add_u32 m0, 0x800, s48                                   // 000000004E68: 807C30FF 00000800
	v_mfma_i32_16x16x32_i8 v[116:119], a[152:153], a[24:25], v[116:119]// 000000004E70: D3D70074 1DD23198
	v_mfma_i32_16x16x32_i8 v[116:119], a[154:155], a[26:27], v[116:119]// 000000004E78: D3D70074 1DD2359A
	buffer_load_dword v66, s[20:23], 0 offen lds               // 000000004E80: E0511000 80050042
	s_add_u32 m0, 0x900, s48                                   // 000000004E88: 807C30FF 00000900
	v_mfma_i32_16x16x32_i8 v[116:119], a[156:157], a[28:29], v[116:119]// 000000004E90: D3D70074 1DD2399C
	v_mfma_i32_16x16x32_i8 v[116:119], a[158:159], a[30:31], v[116:119]// 000000004E98: D3D70074 1DD23D9E
	buffer_load_dword v67, s[20:23], 0 offen lds               // 000000004EA0: E0511000 80050043
	s_add_u32 m0, 0xa00, s48                                   // 000000004EA8: 807C30FF 00000A00
	v_mfma_i32_16x16x32_i8 v[92:95], a[144:145], a[32:33], v[92:95]// 000000004EB0: D3D7005C 1D724190
	v_mfma_i32_16x16x32_i8 v[92:95], a[146:147], a[34:35], v[92:95]// 000000004EB8: D3D7005C 1D724592
	buffer_load_dword v68, s[20:23], 0 offen lds               // 000000004EC0: E0511000 80050044
	s_add_u32 m0, 0xb00, s48                                   // 000000004EC8: 807C30FF 00000B00
	v_mfma_i32_16x16x32_i8 v[92:95], a[148:149], a[36:37], v[92:95]// 000000004ED0: D3D7005C 1D724994
	v_mfma_i32_16x16x32_i8 v[92:95], a[150:151], a[38:39], v[92:95]// 000000004ED8: D3D7005C 1D724D96
	buffer_load_dword v69, s[20:23], 0 offen lds               // 000000004EE0: E0511000 80050045
	s_add_u32 m0, 0xc00, s48                                   // 000000004EE8: 807C30FF 00000C00
	v_mfma_i32_16x16x32_i8 v[120:123], a[152:153], a[32:33], v[120:123]// 000000004EF0: D3D70078 1DE24198
	v_mfma_i32_16x16x32_i8 v[120:123], a[154:155], a[34:35], v[120:123]// 000000004EF8: D3D70078 1DE2459A
	buffer_load_dword v70, s[20:23], 0 offen lds               // 000000004F00: E0511000 80050046
	s_add_u32 m0, 0xd00, s48                                   // 000000004F08: 807C30FF 00000D00
	v_mfma_i32_16x16x32_i8 v[120:123], a[156:157], a[36:37], v[120:123]// 000000004F10: D3D70078 1DE2499C
	v_mfma_i32_16x16x32_i8 v[120:123], a[158:159], a[38:39], v[120:123]// 000000004F18: D3D70078 1DE24D9E
	buffer_load_dword v71, s[20:23], 0 offen lds               // 000000004F20: E0511000 80050047
	s_add_u32 m0, 0, s49                                       // 000000004F28: 807C3180
	v_mfma_i32_16x16x32_i8 v[96:99], a[144:145], a[40:41], v[96:99]// 000000004F2C: D3D70060 1D825190
	v_mfma_i32_16x16x32_i8 v[96:99], a[146:147], a[42:43], v[96:99]// 000000004F34: D3D70060 1D825592
	v_mfma_i32_16x16x32_i8 v[96:99], a[148:149], a[44:45], v[96:99]// 000000004F3C: D3D70060 1D825994
	v_mfma_i32_16x16x32_i8 v[96:99], a[150:151], a[46:47], v[96:99]// 000000004F44: D3D70060 1D825D96
	v_mfma_i32_16x16x32_i8 v[124:127], a[152:153], a[40:41], v[124:127]// 000000004F4C: D3D7007C 1DF25198
	v_mfma_i32_16x16x32_i8 v[124:127], a[154:155], a[42:43], v[124:127]// 000000004F54: D3D7007C 1DF2559A
	v_mfma_i32_16x16x32_i8 v[124:127], a[156:157], a[44:45], v[124:127]// 000000004F5C: D3D7007C 1DF2599C
	v_mfma_i32_16x16x32_i8 v[124:127], a[158:159], a[46:47], v[124:127]// 000000004F64: D3D7007C 1DF25D9E
	v_mfma_i32_16x16x32_i8 v[100:103], a[144:145], a[48:49], v[100:103]// 000000004F6C: D3D70064 1D926190
	v_mfma_i32_16x16x32_i8 v[100:103], a[146:147], a[50:51], v[100:103]// 000000004F74: D3D70064 1D926592
	v_mfma_i32_16x16x32_i8 v[100:103], a[148:149], a[52:53], v[100:103]// 000000004F7C: D3D70064 1D926994
	v_mfma_i32_16x16x32_i8 v[100:103], a[150:151], a[54:55], v[100:103]// 000000004F84: D3D70064 1D926D96
	v_mfma_i32_16x16x32_i8 v[128:131], a[152:153], a[48:49], v[128:131]// 000000004F8C: D3D70080 1E026198
	v_mfma_i32_16x16x32_i8 v[128:131], a[154:155], a[50:51], v[128:131]// 000000004F94: D3D70080 1E02659A
	v_mfma_i32_16x16x32_i8 v[128:131], a[156:157], a[52:53], v[128:131]// 000000004F9C: D3D70080 1E02699C
	v_mfma_i32_16x16x32_i8 v[128:131], a[158:159], a[54:55], v[128:131]// 000000004FA4: D3D70080 1E026D9E
	s_waitcnt vmcnt(18)                                        // 000000004FAC: BF8C4F72
	s_barrier                                                  // 000000004FB0: BF8A0000
	v_mfma_i32_16x16x32_i8 v[132:135], a[112:113], a[0:1], v[132:135]// 000000004FB4: D3D70084 1E120170
	v_mfma_i32_16x16x32_i8 v[132:135], a[114:115], a[2:3], v[132:135]// 000000004FBC: D3D70084 1E120572
	buffer_load_dwordx4 a[144:147], v72, s[84:87], 0 offen     // 000000004FC4: E05C1000 80959048
	v_mfma_i32_16x16x32_i8 v[132:135], a[116:117], a[4:5], v[132:135]// 000000004FCC: D3D70084 1E120974
	v_mfma_i32_16x16x32_i8 v[132:135], a[118:119], a[6:7], v[132:135]// 000000004FD4: D3D70084 1E120D76
	ds_read_b128 a[56:59], v2 offset:28928                     // 000000004FDC: DBFE7100 38000002
	ds_read_b128 a[60:63], v2 offset:28992                     // 000000004FE4: DBFE7140 3C000002
	v_mfma_i32_16x16x32_i8 v[160:163], a[120:121], a[0:1], v[160:163]// 000000004FEC: D3D700A0 1E820178
	v_mfma_i32_16x16x32_i8 v[160:163], a[122:123], a[2:3], v[160:163]// 000000004FF4: D3D700A0 1E82057A
	buffer_load_dwordx4 a[148:151], v72, s[84:87], 0 offen offset:1024// 000000004FFC: E05C1400 80959448
	v_mfma_i32_16x16x32_i8 v[160:163], a[124:125], a[4:5], v[160:163]// 000000005004: D3D700A0 1E82097C
	v_mfma_i32_16x16x32_i8 v[160:163], a[126:127], a[6:7], v[160:163]// 00000000500C: D3D700A0 1E820D7E
	ds_read_b128 a[64:67], v2 offset:29440                     // 000000005014: DBFE7300 40000002
	ds_read_b128 a[68:71], v2 offset:29504                     // 00000000501C: DBFE7340 44000002
	v_mfma_i32_16x16x32_i8 v[136:139], a[112:113], a[8:9], v[136:139]// 000000005024: D3D70088 1E221170
	v_mfma_i32_16x16x32_i8 v[136:139], a[114:115], a[10:11], v[136:139]// 00000000502C: D3D70088 1E221572
	buffer_load_dwordx4 a[152:155], v73, s[84:87], 0 offen     // 000000005034: E05C1000 80959849
	v_mfma_i32_16x16x32_i8 v[136:139], a[116:117], a[12:13], v[136:139]// 00000000503C: D3D70088 1E221974
	v_mfma_i32_16x16x32_i8 v[136:139], a[118:119], a[14:15], v[136:139]// 000000005044: D3D70088 1E221D76
	ds_read_b128 a[72:75], v2 offset:29952                     // 00000000504C: DBFE7500 48000002
	ds_read_b128 a[76:79], v2 offset:30016                     // 000000005054: DBFE7540 4C000002
	v_mfma_i32_16x16x32_i8 v[164:167], a[120:121], a[8:9], v[164:167]// 00000000505C: D3D700A4 1E921178
	v_mfma_i32_16x16x32_i8 v[164:167], a[122:123], a[10:11], v[164:167]// 000000005064: D3D700A4 1E92157A
	buffer_load_dwordx4 a[156:159], v73, s[84:87], 0 offen offset:1024// 00000000506C: E05C1400 80959C49
	v_mfma_i32_16x16x32_i8 v[164:167], a[124:125], a[12:13], v[164:167]// 000000005074: D3D700A4 1E92197C
	v_mfma_i32_16x16x32_i8 v[164:167], a[126:127], a[14:15], v[164:167]// 00000000507C: D3D700A4 1E921D7E
	ds_read_b128 a[80:83], v2 offset:30464                     // 000000005084: DBFE7700 50000002
	ds_read_b128 a[84:87], v2 offset:30528                     // 00000000508C: DBFE7740 54000002
	v_mfma_i32_16x16x32_i8 v[140:143], a[112:113], a[16:17], v[140:143]// 000000005094: D3D7008C 1E322170
	v_mfma_i32_16x16x32_i8 v[140:143], a[114:115], a[18:19], v[140:143]// 00000000509C: D3D7008C 1E322572
	v_mfma_i32_16x16x32_i8 v[140:143], a[116:117], a[20:21], v[140:143]// 0000000050A4: D3D7008C 1E322974
	v_mfma_i32_16x16x32_i8 v[140:143], a[118:119], a[22:23], v[140:143]// 0000000050AC: D3D7008C 1E322D76
	ds_read_b128 a[88:91], v2 offset:30976                     // 0000000050B4: DBFE7900 58000002
	ds_read_b128 a[92:95], v2 offset:31040                     // 0000000050BC: DBFE7940 5C000002
	v_mfma_i32_16x16x32_i8 v[168:171], a[120:121], a[16:17], v[168:171]// 0000000050C4: D3D700A8 1EA22178
	v_mfma_i32_16x16x32_i8 v[168:171], a[122:123], a[18:19], v[168:171]// 0000000050CC: D3D700A8 1EA2257A
	v_mfma_i32_16x16x32_i8 v[168:171], a[124:125], a[20:21], v[168:171]// 0000000050D4: D3D700A8 1EA2297C
	v_mfma_i32_16x16x32_i8 v[168:171], a[126:127], a[22:23], v[168:171]// 0000000050DC: D3D700A8 1EA22D7E
	ds_read_b128 a[96:99], v2 offset:31488                     // 0000000050E4: DBFE7B00 60000002
	ds_read_b128 a[100:103], v2 offset:31552                   // 0000000050EC: DBFE7B40 64000002
	v_mfma_i32_16x16x32_i8 v[144:147], a[112:113], a[24:25], v[144:147]// 0000000050F4: D3D70090 1E423170
	v_mfma_i32_16x16x32_i8 v[144:147], a[114:115], a[26:27], v[144:147]// 0000000050FC: D3D70090 1E423572
	v_mfma_i32_16x16x32_i8 v[144:147], a[116:117], a[28:29], v[144:147]// 000000005104: D3D70090 1E423974
	v_mfma_i32_16x16x32_i8 v[144:147], a[118:119], a[30:31], v[144:147]// 00000000510C: D3D70090 1E423D76
	ds_read_b128 a[104:107], v2 offset:32000                   // 000000005114: DBFE7D00 68000002
	ds_read_b128 a[108:111], v2 offset:32064                   // 00000000511C: DBFE7D40 6C000002
	v_mfma_i32_16x16x32_i8 v[172:175], a[120:121], a[24:25], v[172:175]// 000000005124: D3D700AC 1EB23178
	v_mfma_i32_16x16x32_i8 v[172:175], a[122:123], a[26:27], v[172:175]// 00000000512C: D3D700AC 1EB2357A
	v_mfma_i32_16x16x32_i8 v[172:175], a[124:125], a[28:29], v[172:175]// 000000005134: D3D700AC 1EB2397C
	v_mfma_i32_16x16x32_i8 v[172:175], a[126:127], a[30:31], v[172:175]// 00000000513C: D3D700AC 1EB23D7E
	v_mfma_i32_16x16x32_i8 v[148:151], a[112:113], a[32:33], v[148:151]// 000000005144: D3D70094 1E524170
	v_mfma_i32_16x16x32_i8 v[148:151], a[114:115], a[34:35], v[148:151]// 00000000514C: D3D70094 1E524572
	v_mfma_i32_16x16x32_i8 v[148:151], a[116:117], a[36:37], v[148:151]// 000000005154: D3D70094 1E524974
	v_mfma_i32_16x16x32_i8 v[148:151], a[118:119], a[38:39], v[148:151]// 00000000515C: D3D70094 1E524D76
	v_mfma_i32_16x16x32_i8 v[176:179], a[120:121], a[32:33], v[176:179]// 000000005164: D3D700B0 1EC24178
	v_mfma_i32_16x16x32_i8 v[176:179], a[122:123], a[34:35], v[176:179]// 00000000516C: D3D700B0 1EC2457A
	v_mfma_i32_16x16x32_i8 v[176:179], a[124:125], a[36:37], v[176:179]// 000000005174: D3D700B0 1EC2497C
	v_mfma_i32_16x16x32_i8 v[176:179], a[126:127], a[38:39], v[176:179]// 00000000517C: D3D700B0 1EC24D7E
	v_mfma_i32_16x16x32_i8 v[152:155], a[112:113], a[40:41], v[152:155]// 000000005184: D3D70098 1E625170
	v_mfma_i32_16x16x32_i8 v[152:155], a[114:115], a[42:43], v[152:155]// 00000000518C: D3D70098 1E625572
	v_mfma_i32_16x16x32_i8 v[152:155], a[116:117], a[44:45], v[152:155]// 000000005194: D3D70098 1E625974
	v_mfma_i32_16x16x32_i8 v[152:155], a[118:119], a[46:47], v[152:155]// 00000000519C: D3D70098 1E625D76
	v_mfma_i32_16x16x32_i8 v[180:183], a[120:121], a[40:41], v[180:183]// 0000000051A4: D3D700B4 1ED25178
	v_mfma_i32_16x16x32_i8 v[180:183], a[122:123], a[42:43], v[180:183]// 0000000051AC: D3D700B4 1ED2557A
	v_mfma_i32_16x16x32_i8 v[180:183], a[124:125], a[44:45], v[180:183]// 0000000051B4: D3D700B4 1ED2597C
	v_mfma_i32_16x16x32_i8 v[180:183], a[126:127], a[46:47], v[180:183]// 0000000051BC: D3D700B4 1ED25D7E
	v_mfma_i32_16x16x32_i8 v[156:159], a[112:113], a[48:49], v[156:159]// 0000000051C4: D3D7009C 1E726170
	s_add_u32 s60, 0x180, s80                                  // 0000000051CC: 803C50FF 00000180
	s_cmp_lt_u32 s60, s81                                      // 0000000051D4: BF0A513C
	s_cselect_b32 s57, s57, 0                                  // 0000000051D8: 85398039
	v_mfma_i32_16x16x32_i8 v[156:159], a[114:115], a[50:51], v[156:159]// 0000000051DC: D3D7009C 1E726572
	s_add_u32 s60, 0x100, s80                                  // 0000000051E4: 803C50FF 00000100
	s_cmp_lt_u32 s60, s81                                      // 0000000051EC: BF0A513C
	s_cselect_b32 s58, s58, 0                                  // 0000000051F0: 853A803A
	v_mfma_i32_16x16x32_i8 v[156:159], a[116:117], a[52:53], v[156:159]// 0000000051F4: D3D7009C 1E726974
	s_add_u32 s60, 0x100, s80                                  // 0000000051FC: 803C50FF 00000100
	s_cmp_lt_u32 s60, s81                                      // 000000005204: BF0A513C
	s_cselect_b32 s83, s83, 0                                  // 000000005208: 85538053
	v_mfma_i32_16x16x32_i8 v[156:159], a[118:119], a[54:55], v[156:159]// 00000000520C: D3D7009C 1E726D76
	s_add_u32 s24, s58, s24                                    // 000000005214: 8018183A
	s_addc_u32 s25, 0, s25                                     // 000000005218: 82191980
	v_mfma_i32_16x16x32_i8 v[184:187], a[120:121], a[48:49], v[184:187]// 00000000521C: D3D700B8 1EE26178
	s_add_u32 s20, s57, s20                                    // 000000005224: 80141439
	s_addc_u32 s21, 0, s21                                     // 000000005228: 82151580
	v_mfma_i32_16x16x32_i8 v[184:187], a[122:123], a[50:51], v[184:187]// 00000000522C: D3D700B8 1EE2657A
	s_add_u32 s84, s83, s84                                    // 000000005234: 80545453
	s_addc_u32 s85, 0, s85                                     // 000000005238: 82555580
	v_mfma_i32_16x16x32_i8 v[184:187], a[124:125], a[52:53], v[184:187]// 00000000523C: D3D700B8 1EE2697C
	v_mfma_i32_16x16x32_i8 v[184:187], a[126:127], a[54:55], v[184:187]// 000000005244: D3D700B8 1EE26D7E
	s_addk_i32 s80, 0x80                                       // 00000000524C: B7500080
	s_cmp_lt_i32 s80, s81                                      // 000000005250: BF045150
	s_cbranch_scc0 label_0B72                                  // 000000005254: BF84015C
	s_waitcnt vmcnt(18) lgkmcnt(0)                             // 000000005258: BF8C4072
	v_mfma_i32_16x16x32_i8 v[76:79], a[128:129], a[56:57], v[76:79]// 00000000525C: D3D7004C 1D327180
	v_mfma_i32_16x16x32_i8 v[76:79], a[130:131], a[58:59], v[76:79]// 000000005264: D3D7004C 1D327582
	buffer_load_dwordx4 a[112:115], v72, s[24:27], 0 offen     // 00000000526C: E05C1000 80867048
	v_mfma_i32_16x16x32_i8 v[76:79], a[132:133], a[60:61], v[76:79]// 000000005274: D3D7004C 1D327984
	v_mfma_i32_16x16x32_i8 v[76:79], a[134:135], a[62:63], v[76:79]// 00000000527C: D3D7004C 1D327D86
	v_mfma_i32_16x16x32_i8 v[104:107], a[136:137], a[56:57], v[104:107]// 000000005284: D3D70068 1DA27188
	v_mfma_i32_16x16x32_i8 v[104:107], a[138:139], a[58:59], v[104:107]// 00000000528C: D3D70068 1DA2758A
	buffer_load_dwordx4 a[116:119], v72, s[24:27], 0 offen offset:1024// 000000005294: E05C1400 80867448
	v_mfma_i32_16x16x32_i8 v[104:107], a[140:141], a[60:61], v[104:107]// 00000000529C: D3D70068 1DA2798C
	v_mfma_i32_16x16x32_i8 v[104:107], a[142:143], a[62:63], v[104:107]// 0000000052A4: D3D70068 1DA27D8E
	v_mfma_i32_16x16x32_i8 v[80:83], a[128:129], a[64:65], v[80:83]// 0000000052AC: D3D70050 1D428180
	v_mfma_i32_16x16x32_i8 v[80:83], a[130:131], a[66:67], v[80:83]// 0000000052B4: D3D70050 1D428582
	buffer_load_dwordx4 a[120:123], v73, s[24:27], 0 offen     // 0000000052BC: E05C1000 80867849
	v_mfma_i32_16x16x32_i8 v[80:83], a[132:133], a[68:69], v[80:83]// 0000000052C4: D3D70050 1D428984
	v_mfma_i32_16x16x32_i8 v[80:83], a[134:135], a[70:71], v[80:83]// 0000000052CC: D3D70050 1D428D86
	v_mfma_i32_16x16x32_i8 v[108:111], a[136:137], a[64:65], v[108:111]// 0000000052D4: D3D7006C 1DB28188
	v_mfma_i32_16x16x32_i8 v[108:111], a[138:139], a[66:67], v[108:111]// 0000000052DC: D3D7006C 1DB2858A
	buffer_load_dwordx4 a[124:127], v73, s[24:27], 0 offen offset:1024// 0000000052E4: E05C1400 80867C49
	buffer_load_dword v58, s[20:23], 0 offen lds               // 0000000052EC: E0511000 8005003A
	s_add_u32 m0, 0x100, s49                                   // 0000000052F4: 807C31FF 00000100
	v_mfma_i32_16x16x32_i8 v[108:111], a[140:141], a[68:69], v[108:111]// 0000000052FC: D3D7006C 1DB2898C
	v_mfma_i32_16x16x32_i8 v[108:111], a[142:143], a[70:71], v[108:111]// 000000005304: D3D7006C 1DB28D8E
	buffer_load_dword v59, s[20:23], 0 offen lds               // 00000000530C: E0511000 8005003B
	s_add_u32 m0, 0x200, s49                                   // 000000005314: 807C31FF 00000200
	v_mfma_i32_16x16x32_i8 v[84:87], a[128:129], a[72:73], v[84:87]// 00000000531C: D3D70054 1D529180
	v_mfma_i32_16x16x32_i8 v[84:87], a[130:131], a[74:75], v[84:87]// 000000005324: D3D70054 1D529582
	buffer_load_dword v60, s[20:23], 0 offen lds               // 00000000532C: E0511000 8005003C
	s_add_u32 m0, 0x300, s49                                   // 000000005334: 807C31FF 00000300
	v_mfma_i32_16x16x32_i8 v[84:87], a[132:133], a[76:77], v[84:87]// 00000000533C: D3D70054 1D529984
	v_mfma_i32_16x16x32_i8 v[84:87], a[134:135], a[78:79], v[84:87]// 000000005344: D3D70054 1D529D86
	buffer_load_dword v61, s[20:23], 0 offen lds               // 00000000534C: E0511000 8005003D
	s_add_u32 m0, 0x400, s49                                   // 000000005354: 807C31FF 00000400
	v_mfma_i32_16x16x32_i8 v[112:115], a[136:137], a[72:73], v[112:115]// 00000000535C: D3D70070 1DC29188
	v_mfma_i32_16x16x32_i8 v[112:115], a[138:139], a[74:75], v[112:115]// 000000005364: D3D70070 1DC2958A
	buffer_load_dword v62, s[20:23], 0 offen lds               // 00000000536C: E0511000 8005003E
	s_add_u32 m0, 0x500, s49                                   // 000000005374: 807C31FF 00000500
	v_mfma_i32_16x16x32_i8 v[112:115], a[140:141], a[76:77], v[112:115]// 00000000537C: D3D70070 1DC2998C
	v_mfma_i32_16x16x32_i8 v[112:115], a[142:143], a[78:79], v[112:115]// 000000005384: D3D70070 1DC29D8E
	buffer_load_dword v63, s[20:23], 0 offen lds               // 00000000538C: E0511000 8005003F
	s_add_u32 m0, 0x600, s49                                   // 000000005394: 807C31FF 00000600
	v_mfma_i32_16x16x32_i8 v[88:91], a[128:129], a[80:81], v[88:91]// 00000000539C: D3D70058 1D62A180
	v_mfma_i32_16x16x32_i8 v[88:91], a[130:131], a[82:83], v[88:91]// 0000000053A4: D3D70058 1D62A582
	buffer_load_dword v64, s[20:23], 0 offen lds               // 0000000053AC: E0511000 80050040
	s_add_u32 m0, 0x700, s49                                   // 0000000053B4: 807C31FF 00000700
	v_mfma_i32_16x16x32_i8 v[88:91], a[132:133], a[84:85], v[88:91]// 0000000053BC: D3D70058 1D62A984
	v_mfma_i32_16x16x32_i8 v[88:91], a[134:135], a[86:87], v[88:91]// 0000000053C4: D3D70058 1D62AD86
	buffer_load_dword v65, s[20:23], 0 offen lds               // 0000000053CC: E0511000 80050041
	s_add_u32 m0, 0x800, s49                                   // 0000000053D4: 807C31FF 00000800
	v_mfma_i32_16x16x32_i8 v[116:119], a[136:137], a[80:81], v[116:119]// 0000000053DC: D3D70074 1DD2A188
	v_mfma_i32_16x16x32_i8 v[116:119], a[138:139], a[82:83], v[116:119]// 0000000053E4: D3D70074 1DD2A58A
	buffer_load_dword v66, s[20:23], 0 offen lds               // 0000000053EC: E0511000 80050042
	s_add_u32 m0, 0x900, s49                                   // 0000000053F4: 807C31FF 00000900
	v_mfma_i32_16x16x32_i8 v[116:119], a[140:141], a[84:85], v[116:119]// 0000000053FC: D3D70074 1DD2A98C
	v_mfma_i32_16x16x32_i8 v[116:119], a[142:143], a[86:87], v[116:119]// 000000005404: D3D70074 1DD2AD8E
	buffer_load_dword v67, s[20:23], 0 offen lds               // 00000000540C: E0511000 80050043
	s_add_u32 m0, 0xa00, s49                                   // 000000005414: 807C31FF 00000A00
	v_mfma_i32_16x16x32_i8 v[92:95], a[128:129], a[88:89], v[92:95]// 00000000541C: D3D7005C 1D72B180
	v_mfma_i32_16x16x32_i8 v[92:95], a[130:131], a[90:91], v[92:95]// 000000005424: D3D7005C 1D72B582
	buffer_load_dword v68, s[20:23], 0 offen lds               // 00000000542C: E0511000 80050044
	s_add_u32 m0, 0xb00, s49                                   // 000000005434: 807C31FF 00000B00
	v_mfma_i32_16x16x32_i8 v[92:95], a[132:133], a[92:93], v[92:95]// 00000000543C: D3D7005C 1D72B984
	v_mfma_i32_16x16x32_i8 v[92:95], a[134:135], a[94:95], v[92:95]// 000000005444: D3D7005C 1D72BD86
	buffer_load_dword v69, s[20:23], 0 offen lds               // 00000000544C: E0511000 80050045
	s_add_u32 m0, 0xc00, s49                                   // 000000005454: 807C31FF 00000C00
	v_mfma_i32_16x16x32_i8 v[120:123], a[136:137], a[88:89], v[120:123]// 00000000545C: D3D70078 1DE2B188
	v_mfma_i32_16x16x32_i8 v[120:123], a[138:139], a[90:91], v[120:123]// 000000005464: D3D70078 1DE2B58A
	buffer_load_dword v70, s[20:23], 0 offen lds               // 00000000546C: E0511000 80050046
	s_add_u32 m0, 0xd00, s49                                   // 000000005474: 807C31FF 00000D00
	v_mfma_i32_16x16x32_i8 v[120:123], a[140:141], a[92:93], v[120:123]// 00000000547C: D3D70078 1DE2B98C
	v_mfma_i32_16x16x32_i8 v[120:123], a[142:143], a[94:95], v[120:123]// 000000005484: D3D70078 1DE2BD8E
	buffer_load_dword v71, s[20:23], 0 offen lds               // 00000000548C: E0511000 80050047
	s_add_u32 m0, 0, s50                                       // 000000005494: 807C3280
	v_mfma_i32_16x16x32_i8 v[96:99], a[128:129], a[96:97], v[96:99]// 000000005498: D3D70060 1D82C180
	v_mfma_i32_16x16x32_i8 v[96:99], a[130:131], a[98:99], v[96:99]// 0000000054A0: D3D70060 1D82C582
	v_mfma_i32_16x16x32_i8 v[96:99], a[132:133], a[100:101], v[96:99]// 0000000054A8: D3D70060 1D82C984
	v_mfma_i32_16x16x32_i8 v[96:99], a[134:135], a[102:103], v[96:99]// 0000000054B0: D3D70060 1D82CD86
	v_mfma_i32_16x16x32_i8 v[124:127], a[136:137], a[96:97], v[124:127]// 0000000054B8: D3D7007C 1DF2C188
	v_mfma_i32_16x16x32_i8 v[124:127], a[138:139], a[98:99], v[124:127]// 0000000054C0: D3D7007C 1DF2C58A
	v_mfma_i32_16x16x32_i8 v[124:127], a[140:141], a[100:101], v[124:127]// 0000000054C8: D3D7007C 1DF2C98C
	v_mfma_i32_16x16x32_i8 v[124:127], a[142:143], a[102:103], v[124:127]// 0000000054D0: D3D7007C 1DF2CD8E
	v_mfma_i32_16x16x32_i8 v[100:103], a[128:129], a[104:105], v[100:103]// 0000000054D8: D3D70064 1D92D180
	v_mfma_i32_16x16x32_i8 v[100:103], a[130:131], a[106:107], v[100:103]// 0000000054E0: D3D70064 1D92D582
	v_mfma_i32_16x16x32_i8 v[100:103], a[132:133], a[108:109], v[100:103]// 0000000054E8: D3D70064 1D92D984
	v_mfma_i32_16x16x32_i8 v[100:103], a[134:135], a[110:111], v[100:103]// 0000000054F0: D3D70064 1D92DD86
	v_mfma_i32_16x16x32_i8 v[128:131], a[136:137], a[104:105], v[128:131]// 0000000054F8: D3D70080 1E02D188
	v_mfma_i32_16x16x32_i8 v[128:131], a[138:139], a[106:107], v[128:131]// 000000005500: D3D70080 1E02D58A
	v_mfma_i32_16x16x32_i8 v[128:131], a[140:141], a[108:109], v[128:131]// 000000005508: D3D70080 1E02D98C
	v_mfma_i32_16x16x32_i8 v[128:131], a[142:143], a[110:111], v[128:131]// 000000005510: D3D70080 1E02DD8E
	s_waitcnt vmcnt(18)                                        // 000000005518: BF8C4F72
	s_barrier                                                  // 00000000551C: BF8A0000
	v_mfma_i32_16x16x32_i8 v[132:135], a[144:145], a[56:57], v[132:135]// 000000005520: D3D70084 1E127190
	v_mfma_i32_16x16x32_i8 v[132:135], a[146:147], a[58:59], v[132:135]// 000000005528: D3D70084 1E127592
	buffer_load_dwordx4 a[128:131], v72, s[84:87], 0 offen     // 000000005530: E05C1000 80958048
	v_mfma_i32_16x16x32_i8 v[132:135], a[148:149], a[60:61], v[132:135]// 000000005538: D3D70084 1E127994
	v_mfma_i32_16x16x32_i8 v[132:135], a[150:151], a[62:63], v[132:135]// 000000005540: D3D70084 1E127D96
	ds_read_b128 a[0:3], v2                                    // 000000005548: DBFE0000 00000002
	ds_read_b128 a[4:7], v2 offset:64                          // 000000005550: DBFE0040 04000002
	v_mfma_i32_16x16x32_i8 v[160:163], a[152:153], a[56:57], v[160:163]// 000000005558: D3D700A0 1E827198
	v_mfma_i32_16x16x32_i8 v[160:163], a[154:155], a[58:59], v[160:163]// 000000005560: D3D700A0 1E82759A
	buffer_load_dwordx4 a[132:135], v72, s[84:87], 0 offen offset:1024// 000000005568: E05C1400 80958448
	v_mfma_i32_16x16x32_i8 v[160:163], a[156:157], a[60:61], v[160:163]// 000000005570: D3D700A0 1E82799C
	v_mfma_i32_16x16x32_i8 v[160:163], a[158:159], a[62:63], v[160:163]// 000000005578: D3D700A0 1E827D9E
	ds_read_b128 a[8:11], v2 offset:512                        // 000000005580: DBFE0200 08000002
	ds_read_b128 a[12:15], v2 offset:576                       // 000000005588: DBFE0240 0C000002
	v_mfma_i32_16x16x32_i8 v[136:139], a[144:145], a[64:65], v[136:139]// 000000005590: D3D70088 1E228190
	v_mfma_i32_16x16x32_i8 v[136:139], a[146:147], a[66:67], v[136:139]// 000000005598: D3D70088 1E228592
	buffer_load_dwordx4 a[136:139], v73, s[84:87], 0 offen     // 0000000055A0: E05C1000 80958849
	v_mfma_i32_16x16x32_i8 v[136:139], a[148:149], a[68:69], v[136:139]// 0000000055A8: D3D70088 1E228994
	v_mfma_i32_16x16x32_i8 v[136:139], a[150:151], a[70:71], v[136:139]// 0000000055B0: D3D70088 1E228D96
	ds_read_b128 a[16:19], v2 offset:1024                      // 0000000055B8: DBFE0400 10000002
	ds_read_b128 a[20:23], v2 offset:1088                      // 0000000055C0: DBFE0440 14000002
	v_mfma_i32_16x16x32_i8 v[164:167], a[152:153], a[64:65], v[164:167]// 0000000055C8: D3D700A4 1E928198
	v_mfma_i32_16x16x32_i8 v[164:167], a[154:155], a[66:67], v[164:167]// 0000000055D0: D3D700A4 1E92859A
	buffer_load_dwordx4 a[140:143], v73, s[84:87], 0 offen offset:1024// 0000000055D8: E05C1400 80958C49
	v_mfma_i32_16x16x32_i8 v[164:167], a[156:157], a[68:69], v[164:167]// 0000000055E0: D3D700A4 1E92899C
	v_mfma_i32_16x16x32_i8 v[164:167], a[158:159], a[70:71], v[164:167]// 0000000055E8: D3D700A4 1E928D9E
	ds_read_b128 a[24:27], v2 offset:1536                      // 0000000055F0: DBFE0600 18000002
	ds_read_b128 a[28:31], v2 offset:1600                      // 0000000055F8: DBFE0640 1C000002
	v_mfma_i32_16x16x32_i8 v[140:143], a[144:145], a[72:73], v[140:143]// 000000005600: D3D7008C 1E329190
	v_mfma_i32_16x16x32_i8 v[140:143], a[146:147], a[74:75], v[140:143]// 000000005608: D3D7008C 1E329592
	v_mfma_i32_16x16x32_i8 v[140:143], a[148:149], a[76:77], v[140:143]// 000000005610: D3D7008C 1E329994
	v_mfma_i32_16x16x32_i8 v[140:143], a[150:151], a[78:79], v[140:143]// 000000005618: D3D7008C 1E329D96
	ds_read_b128 a[32:35], v2 offset:2048                      // 000000005620: DBFE0800 20000002
	ds_read_b128 a[36:39], v2 offset:2112                      // 000000005628: DBFE0840 24000002
	v_mfma_i32_16x16x32_i8 v[168:171], a[152:153], a[72:73], v[168:171]// 000000005630: D3D700A8 1EA29198
	v_mfma_i32_16x16x32_i8 v[168:171], a[154:155], a[74:75], v[168:171]// 000000005638: D3D700A8 1EA2959A
	v_mfma_i32_16x16x32_i8 v[168:171], a[156:157], a[76:77], v[168:171]// 000000005640: D3D700A8 1EA2999C
	v_mfma_i32_16x16x32_i8 v[168:171], a[158:159], a[78:79], v[168:171]// 000000005648: D3D700A8 1EA29D9E
	ds_read_b128 a[40:43], v2 offset:2560                      // 000000005650: DBFE0A00 28000002
	ds_read_b128 a[44:47], v2 offset:2624                      // 000000005658: DBFE0A40 2C000002
	v_mfma_i32_16x16x32_i8 v[144:147], a[144:145], a[80:81], v[144:147]// 000000005660: D3D70090 1E42A190
	v_mfma_i32_16x16x32_i8 v[144:147], a[146:147], a[82:83], v[144:147]// 000000005668: D3D70090 1E42A592
	v_mfma_i32_16x16x32_i8 v[144:147], a[148:149], a[84:85], v[144:147]// 000000005670: D3D70090 1E42A994
	v_mfma_i32_16x16x32_i8 v[144:147], a[150:151], a[86:87], v[144:147]// 000000005678: D3D70090 1E42AD96
	ds_read_b128 a[48:51], v2 offset:3072                      // 000000005680: DBFE0C00 30000002
	ds_read_b128 a[52:55], v2 offset:3136                      // 000000005688: DBFE0C40 34000002
	v_mfma_i32_16x16x32_i8 v[172:175], a[152:153], a[80:81], v[172:175]// 000000005690: D3D700AC 1EB2A198
	v_mfma_i32_16x16x32_i8 v[172:175], a[154:155], a[82:83], v[172:175]// 000000005698: D3D700AC 1EB2A59A
	v_mfma_i32_16x16x32_i8 v[172:175], a[156:157], a[84:85], v[172:175]// 0000000056A0: D3D700AC 1EB2A99C
	v_mfma_i32_16x16x32_i8 v[172:175], a[158:159], a[86:87], v[172:175]// 0000000056A8: D3D700AC 1EB2AD9E
	v_mfma_i32_16x16x32_i8 v[148:151], a[144:145], a[88:89], v[148:151]// 0000000056B0: D3D70094 1E52B190
	v_mfma_i32_16x16x32_i8 v[148:151], a[146:147], a[90:91], v[148:151]// 0000000056B8: D3D70094 1E52B592
	v_mfma_i32_16x16x32_i8 v[148:151], a[148:149], a[92:93], v[148:151]// 0000000056C0: D3D70094 1E52B994
	v_mfma_i32_16x16x32_i8 v[148:151], a[150:151], a[94:95], v[148:151]// 0000000056C8: D3D70094 1E52BD96
	v_mfma_i32_16x16x32_i8 v[176:179], a[152:153], a[88:89], v[176:179]// 0000000056D0: D3D700B0 1EC2B198
	v_mfma_i32_16x16x32_i8 v[176:179], a[154:155], a[90:91], v[176:179]// 0000000056D8: D3D700B0 1EC2B59A
	v_mfma_i32_16x16x32_i8 v[176:179], a[156:157], a[92:93], v[176:179]// 0000000056E0: D3D700B0 1EC2B99C
	v_mfma_i32_16x16x32_i8 v[176:179], a[158:159], a[94:95], v[176:179]// 0000000056E8: D3D700B0 1EC2BD9E
	v_mfma_i32_16x16x32_i8 v[152:155], a[144:145], a[96:97], v[152:155]// 0000000056F0: D3D70098 1E62C190
	v_mfma_i32_16x16x32_i8 v[152:155], a[146:147], a[98:99], v[152:155]// 0000000056F8: D3D70098 1E62C592
	v_mfma_i32_16x16x32_i8 v[152:155], a[148:149], a[100:101], v[152:155]// 000000005700: D3D70098 1E62C994
	v_mfma_i32_16x16x32_i8 v[152:155], a[150:151], a[102:103], v[152:155]// 000000005708: D3D70098 1E62CD96
	v_mfma_i32_16x16x32_i8 v[180:183], a[152:153], a[96:97], v[180:183]// 000000005710: D3D700B4 1ED2C198
	v_mfma_i32_16x16x32_i8 v[180:183], a[154:155], a[98:99], v[180:183]// 000000005718: D3D700B4 1ED2C59A
	v_mfma_i32_16x16x32_i8 v[180:183], a[156:157], a[100:101], v[180:183]// 000000005720: D3D700B4 1ED2C99C
	v_mfma_i32_16x16x32_i8 v[180:183], a[158:159], a[102:103], v[180:183]// 000000005728: D3D700B4 1ED2CD9E
	v_mfma_i32_16x16x32_i8 v[156:159], a[144:145], a[104:105], v[156:159]// 000000005730: D3D7009C 1E72D190
	s_add_u32 s60, 0x180, s80                                  // 000000005738: 803C50FF 00000180
	s_cmp_lt_u32 s60, s81                                      // 000000005740: BF0A513C
	s_cselect_b32 s57, s57, 0                                  // 000000005744: 85398039
	v_mfma_i32_16x16x32_i8 v[156:159], a[146:147], a[106:107], v[156:159]// 000000005748: D3D7009C 1E72D592
	s_add_u32 s60, 0x100, s80                                  // 000000005750: 803C50FF 00000100
	s_cmp_lt_u32 s60, s81                                      // 000000005758: BF0A513C
	s_cselect_b32 s58, s58, 0                                  // 00000000575C: 853A803A
	v_mfma_i32_16x16x32_i8 v[156:159], a[148:149], a[108:109], v[156:159]// 000000005760: D3D7009C 1E72D994
	s_add_u32 s60, 0x100, s80                                  // 000000005768: 803C50FF 00000100
	s_cmp_lt_u32 s60, s81                                      // 000000005770: BF0A513C
	s_cselect_b32 s83, s83, 0                                  // 000000005774: 85538053
	v_mfma_i32_16x16x32_i8 v[156:159], a[150:151], a[110:111], v[156:159]// 000000005778: D3D7009C 1E72DD96
	s_add_u32 s24, s58, s24                                    // 000000005780: 8018183A
	s_addc_u32 s25, 0, s25                                     // 000000005784: 82191980
	v_mfma_i32_16x16x32_i8 v[184:187], a[152:153], a[104:105], v[184:187]// 000000005788: D3D700B8 1EE2D198
	s_add_u32 s20, s57, s20                                    // 000000005790: 80141439
	s_addc_u32 s21, 0, s21                                     // 000000005794: 82151580
	v_mfma_i32_16x16x32_i8 v[184:187], a[154:155], a[106:107], v[184:187]// 000000005798: D3D700B8 1EE2D59A
	s_add_u32 s84, s83, s84                                    // 0000000057A0: 80545453
	s_addc_u32 s85, 0, s85                                     // 0000000057A4: 82555580
	v_mfma_i32_16x16x32_i8 v[184:187], a[156:157], a[108:109], v[184:187]// 0000000057A8: D3D700B8 1EE2D99C
	v_mfma_i32_16x16x32_i8 v[184:187], a[158:159], a[110:111], v[184:187]// 0000000057B0: D3D700B8 1EE2DD9E
	s_addk_i32 s80, 0x80                                       // 0000000057B8: B7500080
	s_cmp_lt_i32 s80, s81                                      // 0000000057BC: BF045150
	s_cbranch_scc0 label_0B72                                  // 0000000057C0: BF840001
	s_branch label_034F                                        // 0000000057C4: BF82F7DD

00000000000057c8 <label_0B72>:
	v_cvt_f32_i32_e32 v76, v76                                 // 0000000057C8: 7E980B4C
	v_cvt_f32_i32_e32 v77, v77                                 // 0000000057CC: 7E9A0B4D
	v_cvt_f32_i32_e32 v78, v78                                 // 0000000057D0: 7E9C0B4E
	v_cvt_f32_i32_e32 v79, v79                                 // 0000000057D4: 7E9E0B4F
	v_mul_f32_dpp v76, v24, v76 row_newbcast:0 row_mask:0xf bank_mask:0xf// 0000000057D8: 0A9898FA FF015018
	v_mul_f32_dpp v77, v24, v77 row_newbcast:1 row_mask:0xf bank_mask:0xf// 0000000057E0: 0A9A9AFA FF015118
	v_mul_f32_dpp v78, v24, v78 row_newbcast:2 row_mask:0xf bank_mask:0xf// 0000000057E8: 0A9C9CFA FF015218
	v_mul_f32_dpp v79, v24, v79 row_newbcast:3 row_mask:0xf bank_mask:0xf// 0000000057F0: 0A9E9EFA FF015318
	v_cvt_f32_i32_e32 v80, v80                                 // 0000000057F8: 7EA00B50
	v_cvt_f32_i32_e32 v81, v81                                 // 0000000057FC: 7EA20B51
	v_cvt_f32_i32_e32 v82, v82                                 // 000000005800: 7EA40B52
	v_cvt_f32_i32_e32 v83, v83                                 // 000000005804: 7EA60B53
	v_mul_f32_dpp v80, v24, v80 row_newbcast:0 row_mask:0xf bank_mask:0xf// 000000005808: 0AA0A0FA FF015018
	v_mul_f32_dpp v81, v24, v81 row_newbcast:1 row_mask:0xf bank_mask:0xf// 000000005810: 0AA2A2FA FF015118
	v_mul_f32_dpp v82, v24, v82 row_newbcast:2 row_mask:0xf bank_mask:0xf// 000000005818: 0AA4A4FA FF015218
	v_mul_f32_dpp v83, v24, v83 row_newbcast:3 row_mask:0xf bank_mask:0xf// 000000005820: 0AA6A6FA FF015318
	v_cvt_f32_i32_e32 v84, v84                                 // 000000005828: 7EA80B54
	v_cvt_f32_i32_e32 v85, v85                                 // 00000000582C: 7EAA0B55
	v_cvt_f32_i32_e32 v86, v86                                 // 000000005830: 7EAC0B56
	v_cvt_f32_i32_e32 v87, v87                                 // 000000005834: 7EAE0B57
	v_mul_f32_dpp v84, v24, v84 row_newbcast:0 row_mask:0xf bank_mask:0xf// 000000005838: 0AA8A8FA FF015018
	v_mul_f32_dpp v85, v24, v85 row_newbcast:1 row_mask:0xf bank_mask:0xf// 000000005840: 0AAAAAFA FF015118
	v_mul_f32_dpp v86, v24, v86 row_newbcast:2 row_mask:0xf bank_mask:0xf// 000000005848: 0AACACFA FF015218
	v_mul_f32_dpp v87, v24, v87 row_newbcast:3 row_mask:0xf bank_mask:0xf// 000000005850: 0AAEAEFA FF015318
	v_cvt_f32_i32_e32 v88, v88                                 // 000000005858: 7EB00B58
	v_cvt_f32_i32_e32 v89, v89                                 // 00000000585C: 7EB20B59
	v_cvt_f32_i32_e32 v90, v90                                 // 000000005860: 7EB40B5A
	v_cvt_f32_i32_e32 v91, v91                                 // 000000005864: 7EB60B5B
	v_mul_f32_dpp v88, v24, v88 row_newbcast:0 row_mask:0xf bank_mask:0xf// 000000005868: 0AB0B0FA FF015018
	v_mul_f32_dpp v89, v24, v89 row_newbcast:1 row_mask:0xf bank_mask:0xf// 000000005870: 0AB2B2FA FF015118
	v_mul_f32_dpp v90, v24, v90 row_newbcast:2 row_mask:0xf bank_mask:0xf// 000000005878: 0AB4B4FA FF015218
	v_mul_f32_dpp v91, v24, v91 row_newbcast:3 row_mask:0xf bank_mask:0xf// 000000005880: 0AB6B6FA FF015318
	v_cvt_f32_i32_e32 v92, v92                                 // 000000005888: 7EB80B5C
	v_cvt_f32_i32_e32 v93, v93                                 // 00000000588C: 7EBA0B5D
	v_cvt_f32_i32_e32 v94, v94                                 // 000000005890: 7EBC0B5E
	v_cvt_f32_i32_e32 v95, v95                                 // 000000005894: 7EBE0B5F
	v_mul_f32_dpp v92, v24, v92 row_newbcast:0 row_mask:0xf bank_mask:0xf// 000000005898: 0AB8B8FA FF015018
	v_mul_f32_dpp v93, v24, v93 row_newbcast:1 row_mask:0xf bank_mask:0xf// 0000000058A0: 0ABABAFA FF015118
	v_mul_f32_dpp v94, v24, v94 row_newbcast:2 row_mask:0xf bank_mask:0xf// 0000000058A8: 0ABCBCFA FF015218
	v_mul_f32_dpp v95, v24, v95 row_newbcast:3 row_mask:0xf bank_mask:0xf// 0000000058B0: 0ABEBEFA FF015318
	v_cvt_f32_i32_e32 v96, v96                                 // 0000000058B8: 7EC00B60
	v_cvt_f32_i32_e32 v97, v97                                 // 0000000058BC: 7EC20B61
	v_cvt_f32_i32_e32 v98, v98                                 // 0000000058C0: 7EC40B62
	v_cvt_f32_i32_e32 v99, v99                                 // 0000000058C4: 7EC60B63
	v_mul_f32_dpp v96, v24, v96 row_newbcast:0 row_mask:0xf bank_mask:0xf// 0000000058C8: 0AC0C0FA FF015018
	v_mul_f32_dpp v97, v24, v97 row_newbcast:1 row_mask:0xf bank_mask:0xf// 0000000058D0: 0AC2C2FA FF015118
	v_mul_f32_dpp v98, v24, v98 row_newbcast:2 row_mask:0xf bank_mask:0xf// 0000000058D8: 0AC4C4FA FF015218
	v_mul_f32_dpp v99, v24, v99 row_newbcast:3 row_mask:0xf bank_mask:0xf// 0000000058E0: 0AC6C6FA FF015318
	v_cvt_f32_i32_e32 v100, v100                               // 0000000058E8: 7EC80B64
	v_cvt_f32_i32_e32 v101, v101                               // 0000000058EC: 7ECA0B65
	v_cvt_f32_i32_e32 v102, v102                               // 0000000058F0: 7ECC0B66
	v_cvt_f32_i32_e32 v103, v103                               // 0000000058F4: 7ECE0B67
	v_mul_f32_dpp v100, v24, v100 row_newbcast:0 row_mask:0xf bank_mask:0xf// 0000000058F8: 0AC8C8FA FF015018
	v_mul_f32_dpp v101, v24, v101 row_newbcast:1 row_mask:0xf bank_mask:0xf// 000000005900: 0ACACAFA FF015118
	v_mul_f32_dpp v102, v24, v102 row_newbcast:2 row_mask:0xf bank_mask:0xf// 000000005908: 0ACCCCFA FF015218
	v_mul_f32_dpp v103, v24, v103 row_newbcast:3 row_mask:0xf bank_mask:0xf// 000000005910: 0ACECEFA FF015318
	v_cvt_f32_i32_e32 v104, v104                               // 000000005918: 7ED00B68
	v_cvt_f32_i32_e32 v105, v105                               // 00000000591C: 7ED20B69
	v_cvt_f32_i32_e32 v106, v106                               // 000000005920: 7ED40B6A
	v_cvt_f32_i32_e32 v107, v107                               // 000000005924: 7ED60B6B
	v_mul_f32_dpp v104, v24, v104 row_newbcast:4 row_mask:0xf bank_mask:0xf// 000000005928: 0AD0D0FA FF015418
	v_mul_f32_dpp v105, v24, v105 row_newbcast:5 row_mask:0xf bank_mask:0xf// 000000005930: 0AD2D2FA FF015518
	v_mul_f32_dpp v106, v24, v106 row_newbcast:6 row_mask:0xf bank_mask:0xf// 000000005938: 0AD4D4FA FF015618
	v_mul_f32_dpp v107, v24, v107 row_newbcast:7 row_mask:0xf bank_mask:0xf// 000000005940: 0AD6D6FA FF015718
	v_cvt_f32_i32_e32 v108, v108                               // 000000005948: 7ED80B6C
	v_cvt_f32_i32_e32 v109, v109                               // 00000000594C: 7EDA0B6D
	v_cvt_f32_i32_e32 v110, v110                               // 000000005950: 7EDC0B6E
	v_cvt_f32_i32_e32 v111, v111                               // 000000005954: 7EDE0B6F
	v_mul_f32_dpp v108, v24, v108 row_newbcast:4 row_mask:0xf bank_mask:0xf// 000000005958: 0AD8D8FA FF015418
	v_mul_f32_dpp v109, v24, v109 row_newbcast:5 row_mask:0xf bank_mask:0xf// 000000005960: 0ADADAFA FF015518
	v_mul_f32_dpp v110, v24, v110 row_newbcast:6 row_mask:0xf bank_mask:0xf// 000000005968: 0ADCDCFA FF015618
	v_mul_f32_dpp v111, v24, v111 row_newbcast:7 row_mask:0xf bank_mask:0xf// 000000005970: 0ADEDEFA FF015718
	v_cvt_f32_i32_e32 v112, v112                               // 000000005978: 7EE00B70
	v_cvt_f32_i32_e32 v113, v113                               // 00000000597C: 7EE20B71
	v_cvt_f32_i32_e32 v114, v114                               // 000000005980: 7EE40B72
	v_cvt_f32_i32_e32 v115, v115                               // 000000005984: 7EE60B73
	v_mul_f32_dpp v112, v24, v112 row_newbcast:4 row_mask:0xf bank_mask:0xf// 000000005988: 0AE0E0FA FF015418
	v_mul_f32_dpp v113, v24, v113 row_newbcast:5 row_mask:0xf bank_mask:0xf// 000000005990: 0AE2E2FA FF015518
	v_mul_f32_dpp v114, v24, v114 row_newbcast:6 row_mask:0xf bank_mask:0xf// 000000005998: 0AE4E4FA FF015618
	v_mul_f32_dpp v115, v24, v115 row_newbcast:7 row_mask:0xf bank_mask:0xf// 0000000059A0: 0AE6E6FA FF015718
	v_cvt_f32_i32_e32 v116, v116                               // 0000000059A8: 7EE80B74
	v_cvt_f32_i32_e32 v117, v117                               // 0000000059AC: 7EEA0B75
	v_cvt_f32_i32_e32 v118, v118                               // 0000000059B0: 7EEC0B76
	v_cvt_f32_i32_e32 v119, v119                               // 0000000059B4: 7EEE0B77
	v_mul_f32_dpp v116, v24, v116 row_newbcast:4 row_mask:0xf bank_mask:0xf// 0000000059B8: 0AE8E8FA FF015418
	v_mul_f32_dpp v117, v24, v117 row_newbcast:5 row_mask:0xf bank_mask:0xf// 0000000059C0: 0AEAEAFA FF015518
	v_mul_f32_dpp v118, v24, v118 row_newbcast:6 row_mask:0xf bank_mask:0xf// 0000000059C8: 0AECECFA FF015618
	v_mul_f32_dpp v119, v24, v119 row_newbcast:7 row_mask:0xf bank_mask:0xf// 0000000059D0: 0AEEEEFA FF015718
	v_cvt_f32_i32_e32 v120, v120                               // 0000000059D8: 7EF00B78
	v_cvt_f32_i32_e32 v121, v121                               // 0000000059DC: 7EF20B79
	v_cvt_f32_i32_e32 v122, v122                               // 0000000059E0: 7EF40B7A
	v_cvt_f32_i32_e32 v123, v123                               // 0000000059E4: 7EF60B7B
	v_mul_f32_dpp v120, v24, v120 row_newbcast:4 row_mask:0xf bank_mask:0xf// 0000000059E8: 0AF0F0FA FF015418
	v_mul_f32_dpp v121, v24, v121 row_newbcast:5 row_mask:0xf bank_mask:0xf// 0000000059F0: 0AF2F2FA FF015518
	v_mul_f32_dpp v122, v24, v122 row_newbcast:6 row_mask:0xf bank_mask:0xf// 0000000059F8: 0AF4F4FA FF015618
	v_mul_f32_dpp v123, v24, v123 row_newbcast:7 row_mask:0xf bank_mask:0xf// 000000005A00: 0AF6F6FA FF015718
	v_cvt_f32_i32_e32 v124, v124                               // 000000005A08: 7EF80B7C
	v_cvt_f32_i32_e32 v125, v125                               // 000000005A0C: 7EFA0B7D
	v_cvt_f32_i32_e32 v126, v126                               // 000000005A10: 7EFC0B7E
	v_cvt_f32_i32_e32 v127, v127                               // 000000005A14: 7EFE0B7F
	v_mul_f32_dpp v124, v24, v124 row_newbcast:4 row_mask:0xf bank_mask:0xf// 000000005A18: 0AF8F8FA FF015418
	v_mul_f32_dpp v125, v24, v125 row_newbcast:5 row_mask:0xf bank_mask:0xf// 000000005A20: 0AFAFAFA FF015518
	v_mul_f32_dpp v126, v24, v126 row_newbcast:6 row_mask:0xf bank_mask:0xf// 000000005A28: 0AFCFCFA FF015618
	v_mul_f32_dpp v127, v24, v127 row_newbcast:7 row_mask:0xf bank_mask:0xf// 000000005A30: 0AFEFEFA FF015718
	v_cvt_f32_i32_e32 v128, v128                               // 000000005A38: 7F000B80
	v_cvt_f32_i32_e32 v129, v129                               // 000000005A3C: 7F020B81
	v_cvt_f32_i32_e32 v130, v130                               // 000000005A40: 7F040B82
	v_cvt_f32_i32_e32 v131, v131                               // 000000005A44: 7F060B83
	v_mul_f32_dpp v128, v24, v128 row_newbcast:4 row_mask:0xf bank_mask:0xf// 000000005A48: 0B0100FA FF015418
	v_mul_f32_dpp v129, v24, v129 row_newbcast:5 row_mask:0xf bank_mask:0xf// 000000005A50: 0B0302FA FF015518
	v_mul_f32_dpp v130, v24, v130 row_newbcast:6 row_mask:0xf bank_mask:0xf// 000000005A58: 0B0504FA FF015618
	v_mul_f32_dpp v131, v24, v131 row_newbcast:7 row_mask:0xf bank_mask:0xf// 000000005A60: 0B0706FA FF015718
	v_cvt_f32_i32_e32 v132, v132                               // 000000005A68: 7F080B84
	v_cvt_f32_i32_e32 v133, v133                               // 000000005A6C: 7F0A0B85
	v_cvt_f32_i32_e32 v134, v134                               // 000000005A70: 7F0C0B86
	v_cvt_f32_i32_e32 v135, v135                               // 000000005A74: 7F0E0B87
	v_mul_f32_dpp v132, v27, v132 row_newbcast:0 row_mask:0xf bank_mask:0xf// 000000005A78: 0B0908FA FF01501B
	v_mul_f32_dpp v133, v27, v133 row_newbcast:1 row_mask:0xf bank_mask:0xf// 000000005A80: 0B0B0AFA FF01511B
	v_mul_f32_dpp v134, v27, v134 row_newbcast:2 row_mask:0xf bank_mask:0xf// 000000005A88: 0B0D0CFA FF01521B
	v_mul_f32_dpp v135, v27, v135 row_newbcast:3 row_mask:0xf bank_mask:0xf// 000000005A90: 0B0F0EFA FF01531B
	v_cvt_f32_i32_e32 v136, v136                               // 000000005A98: 7F100B88
	v_cvt_f32_i32_e32 v137, v137                               // 000000005A9C: 7F120B89
	v_cvt_f32_i32_e32 v138, v138                               // 000000005AA0: 7F140B8A
	v_cvt_f32_i32_e32 v139, v139                               // 000000005AA4: 7F160B8B
	v_mul_f32_dpp v136, v27, v136 row_newbcast:0 row_mask:0xf bank_mask:0xf// 000000005AA8: 0B1110FA FF01501B
	v_mul_f32_dpp v137, v27, v137 row_newbcast:1 row_mask:0xf bank_mask:0xf// 000000005AB0: 0B1312FA FF01511B
	v_mul_f32_dpp v138, v27, v138 row_newbcast:2 row_mask:0xf bank_mask:0xf// 000000005AB8: 0B1514FA FF01521B
	v_mul_f32_dpp v139, v27, v139 row_newbcast:3 row_mask:0xf bank_mask:0xf// 000000005AC0: 0B1716FA FF01531B
	v_cvt_f32_i32_e32 v140, v140                               // 000000005AC8: 7F180B8C
	v_cvt_f32_i32_e32 v141, v141                               // 000000005ACC: 7F1A0B8D
	v_cvt_f32_i32_e32 v142, v142                               // 000000005AD0: 7F1C0B8E
	v_cvt_f32_i32_e32 v143, v143                               // 000000005AD4: 7F1E0B8F
	v_mul_f32_dpp v140, v27, v140 row_newbcast:0 row_mask:0xf bank_mask:0xf// 000000005AD8: 0B1918FA FF01501B
	v_mul_f32_dpp v141, v27, v141 row_newbcast:1 row_mask:0xf bank_mask:0xf// 000000005AE0: 0B1B1AFA FF01511B
	v_mul_f32_dpp v142, v27, v142 row_newbcast:2 row_mask:0xf bank_mask:0xf// 000000005AE8: 0B1D1CFA FF01521B
	v_mul_f32_dpp v143, v27, v143 row_newbcast:3 row_mask:0xf bank_mask:0xf// 000000005AF0: 0B1F1EFA FF01531B
	v_cvt_f32_i32_e32 v144, v144                               // 000000005AF8: 7F200B90
	v_cvt_f32_i32_e32 v145, v145                               // 000000005AFC: 7F220B91
	v_cvt_f32_i32_e32 v146, v146                               // 000000005B00: 7F240B92
	v_cvt_f32_i32_e32 v147, v147                               // 000000005B04: 7F260B93
	v_mul_f32_dpp v144, v27, v144 row_newbcast:0 row_mask:0xf bank_mask:0xf// 000000005B08: 0B2120FA FF01501B
	v_mul_f32_dpp v145, v27, v145 row_newbcast:1 row_mask:0xf bank_mask:0xf// 000000005B10: 0B2322FA FF01511B
	v_mul_f32_dpp v146, v27, v146 row_newbcast:2 row_mask:0xf bank_mask:0xf// 000000005B18: 0B2524FA FF01521B
	v_mul_f32_dpp v147, v27, v147 row_newbcast:3 row_mask:0xf bank_mask:0xf// 000000005B20: 0B2726FA FF01531B
	v_cvt_f32_i32_e32 v148, v148                               // 000000005B28: 7F280B94
	v_cvt_f32_i32_e32 v149, v149                               // 000000005B2C: 7F2A0B95
	v_cvt_f32_i32_e32 v150, v150                               // 000000005B30: 7F2C0B96
	v_cvt_f32_i32_e32 v151, v151                               // 000000005B34: 7F2E0B97
	v_mul_f32_dpp v148, v27, v148 row_newbcast:0 row_mask:0xf bank_mask:0xf// 000000005B38: 0B2928FA FF01501B
	v_mul_f32_dpp v149, v27, v149 row_newbcast:1 row_mask:0xf bank_mask:0xf// 000000005B40: 0B2B2AFA FF01511B
	v_mul_f32_dpp v150, v27, v150 row_newbcast:2 row_mask:0xf bank_mask:0xf// 000000005B48: 0B2D2CFA FF01521B
	v_mul_f32_dpp v151, v27, v151 row_newbcast:3 row_mask:0xf bank_mask:0xf// 000000005B50: 0B2F2EFA FF01531B
	v_cvt_f32_i32_e32 v152, v152                               // 000000005B58: 7F300B98
	v_cvt_f32_i32_e32 v153, v153                               // 000000005B5C: 7F320B99
	v_cvt_f32_i32_e32 v154, v154                               // 000000005B60: 7F340B9A
	v_cvt_f32_i32_e32 v155, v155                               // 000000005B64: 7F360B9B
	v_mul_f32_dpp v152, v27, v152 row_newbcast:0 row_mask:0xf bank_mask:0xf// 000000005B68: 0B3130FA FF01501B
	v_mul_f32_dpp v153, v27, v153 row_newbcast:1 row_mask:0xf bank_mask:0xf// 000000005B70: 0B3332FA FF01511B
	v_mul_f32_dpp v154, v27, v154 row_newbcast:2 row_mask:0xf bank_mask:0xf// 000000005B78: 0B3534FA FF01521B
	v_mul_f32_dpp v155, v27, v155 row_newbcast:3 row_mask:0xf bank_mask:0xf// 000000005B80: 0B3736FA FF01531B
	v_cvt_f32_i32_e32 v156, v156                               // 000000005B88: 7F380B9C
	v_cvt_f32_i32_e32 v157, v157                               // 000000005B8C: 7F3A0B9D
	v_cvt_f32_i32_e32 v158, v158                               // 000000005B90: 7F3C0B9E
	v_cvt_f32_i32_e32 v159, v159                               // 000000005B94: 7F3E0B9F
	v_mul_f32_dpp v156, v27, v156 row_newbcast:0 row_mask:0xf bank_mask:0xf// 000000005B98: 0B3938FA FF01501B
	v_mul_f32_dpp v157, v27, v157 row_newbcast:1 row_mask:0xf bank_mask:0xf// 000000005BA0: 0B3B3AFA FF01511B
	v_mul_f32_dpp v158, v27, v158 row_newbcast:2 row_mask:0xf bank_mask:0xf// 000000005BA8: 0B3D3CFA FF01521B
	v_mul_f32_dpp v159, v27, v159 row_newbcast:3 row_mask:0xf bank_mask:0xf// 000000005BB0: 0B3F3EFA FF01531B
	v_cvt_f32_i32_e32 v160, v160                               // 000000005BB8: 7F400BA0
	v_cvt_f32_i32_e32 v161, v161                               // 000000005BBC: 7F420BA1
	v_cvt_f32_i32_e32 v162, v162                               // 000000005BC0: 7F440BA2
	v_cvt_f32_i32_e32 v163, v163                               // 000000005BC4: 7F460BA3
	v_mul_f32_dpp v160, v27, v160 row_newbcast:4 row_mask:0xf bank_mask:0xf// 000000005BC8: 0B4140FA FF01541B
	v_mul_f32_dpp v161, v27, v161 row_newbcast:5 row_mask:0xf bank_mask:0xf// 000000005BD0: 0B4342FA FF01551B
	v_mul_f32_dpp v162, v27, v162 row_newbcast:6 row_mask:0xf bank_mask:0xf// 000000005BD8: 0B4544FA FF01561B
	v_mul_f32_dpp v163, v27, v163 row_newbcast:7 row_mask:0xf bank_mask:0xf// 000000005BE0: 0B4746FA FF01571B
	v_cvt_f32_i32_e32 v164, v164                               // 000000005BE8: 7F480BA4
	v_cvt_f32_i32_e32 v165, v165                               // 000000005BEC: 7F4A0BA5
	v_cvt_f32_i32_e32 v166, v166                               // 000000005BF0: 7F4C0BA6
	v_cvt_f32_i32_e32 v167, v167                               // 000000005BF4: 7F4E0BA7
	v_mul_f32_dpp v164, v27, v164 row_newbcast:4 row_mask:0xf bank_mask:0xf// 000000005BF8: 0B4948FA FF01541B
	v_mul_f32_dpp v165, v27, v165 row_newbcast:5 row_mask:0xf bank_mask:0xf// 000000005C00: 0B4B4AFA FF01551B
	v_mul_f32_dpp v166, v27, v166 row_newbcast:6 row_mask:0xf bank_mask:0xf// 000000005C08: 0B4D4CFA FF01561B
	v_mul_f32_dpp v167, v27, v167 row_newbcast:7 row_mask:0xf bank_mask:0xf// 000000005C10: 0B4F4EFA FF01571B
	v_cvt_f32_i32_e32 v168, v168                               // 000000005C18: 7F500BA8
	v_cvt_f32_i32_e32 v169, v169                               // 000000005C1C: 7F520BA9
	v_cvt_f32_i32_e32 v170, v170                               // 000000005C20: 7F540BAA
	v_cvt_f32_i32_e32 v171, v171                               // 000000005C24: 7F560BAB
	v_mul_f32_dpp v168, v27, v168 row_newbcast:4 row_mask:0xf bank_mask:0xf// 000000005C28: 0B5150FA FF01541B
	v_mul_f32_dpp v169, v27, v169 row_newbcast:5 row_mask:0xf bank_mask:0xf// 000000005C30: 0B5352FA FF01551B
	v_mul_f32_dpp v170, v27, v170 row_newbcast:6 row_mask:0xf bank_mask:0xf// 000000005C38: 0B5554FA FF01561B
	v_mul_f32_dpp v171, v27, v171 row_newbcast:7 row_mask:0xf bank_mask:0xf// 000000005C40: 0B5756FA FF01571B
	v_cvt_f32_i32_e32 v172, v172                               // 000000005C48: 7F580BAC
	v_cvt_f32_i32_e32 v173, v173                               // 000000005C4C: 7F5A0BAD
	v_cvt_f32_i32_e32 v174, v174                               // 000000005C50: 7F5C0BAE
	v_cvt_f32_i32_e32 v175, v175                               // 000000005C54: 7F5E0BAF
	v_mul_f32_dpp v172, v27, v172 row_newbcast:4 row_mask:0xf bank_mask:0xf// 000000005C58: 0B5958FA FF01541B
	v_mul_f32_dpp v173, v27, v173 row_newbcast:5 row_mask:0xf bank_mask:0xf// 000000005C60: 0B5B5AFA FF01551B
	v_mul_f32_dpp v174, v27, v174 row_newbcast:6 row_mask:0xf bank_mask:0xf// 000000005C68: 0B5D5CFA FF01561B
	v_mul_f32_dpp v175, v27, v175 row_newbcast:7 row_mask:0xf bank_mask:0xf// 000000005C70: 0B5F5EFA FF01571B
	v_cvt_f32_i32_e32 v176, v176                               // 000000005C78: 7F600BB0
	v_cvt_f32_i32_e32 v177, v177                               // 000000005C7C: 7F620BB1
	v_cvt_f32_i32_e32 v178, v178                               // 000000005C80: 7F640BB2
	v_cvt_f32_i32_e32 v179, v179                               // 000000005C84: 7F660BB3
	v_mul_f32_dpp v176, v27, v176 row_newbcast:4 row_mask:0xf bank_mask:0xf// 000000005C88: 0B6160FA FF01541B
	v_mul_f32_dpp v177, v27, v177 row_newbcast:5 row_mask:0xf bank_mask:0xf// 000000005C90: 0B6362FA FF01551B
	v_mul_f32_dpp v178, v27, v178 row_newbcast:6 row_mask:0xf bank_mask:0xf// 000000005C98: 0B6564FA FF01561B
	v_mul_f32_dpp v179, v27, v179 row_newbcast:7 row_mask:0xf bank_mask:0xf// 000000005CA0: 0B6766FA FF01571B
	v_cvt_f32_i32_e32 v180, v180                               // 000000005CA8: 7F680BB4
	v_cvt_f32_i32_e32 v181, v181                               // 000000005CAC: 7F6A0BB5
	v_cvt_f32_i32_e32 v182, v182                               // 000000005CB0: 7F6C0BB6
	v_cvt_f32_i32_e32 v183, v183                               // 000000005CB4: 7F6E0BB7
	v_mul_f32_dpp v180, v27, v180 row_newbcast:4 row_mask:0xf bank_mask:0xf// 000000005CB8: 0B6968FA FF01541B
	v_mul_f32_dpp v181, v27, v181 row_newbcast:5 row_mask:0xf bank_mask:0xf// 000000005CC0: 0B6B6AFA FF01551B
	v_mul_f32_dpp v182, v27, v182 row_newbcast:6 row_mask:0xf bank_mask:0xf// 000000005CC8: 0B6D6CFA FF01561B
	v_mul_f32_dpp v183, v27, v183 row_newbcast:7 row_mask:0xf bank_mask:0xf// 000000005CD0: 0B6F6EFA FF01571B
	v_cvt_f32_i32_e32 v184, v184                               // 000000005CD8: 7F700BB8
	v_cvt_f32_i32_e32 v185, v185                               // 000000005CDC: 7F720BB9
	v_cvt_f32_i32_e32 v186, v186                               // 000000005CE0: 7F740BBA
	v_cvt_f32_i32_e32 v187, v187                               // 000000005CE4: 7F760BBB
	v_mul_f32_dpp v184, v27, v184 row_newbcast:4 row_mask:0xf bank_mask:0xf// 000000005CE8: 0B7170FA FF01541B
	v_mul_f32_dpp v185, v27, v185 row_newbcast:5 row_mask:0xf bank_mask:0xf// 000000005CF0: 0B7372FA FF01551B
	v_mul_f32_dpp v186, v27, v186 row_newbcast:6 row_mask:0xf bank_mask:0xf// 000000005CF8: 0B7574FA FF01561B
	v_mul_f32_dpp v187, v27, v187 row_newbcast:7 row_mask:0xf bank_mask:0xf// 000000005D00: 0B7776FA FF01571B
	v_mov_b32_e32 v4, v37                                      // 000000005D08: 7E080325
	v_mov_b32_e32 v5, v4                                       // 000000005D0C: 7E0A0304
	v_pk_mul_f32 v[76:77], v[4:5], v[76:77]                    // 000000005D10: D3B1404C 18029904
	v_pk_mul_f32 v[132:133], v[4:5], v[132:133]                // 000000005D18: D3B14084 18030904
	v_pk_mul_f32 v[78:79], v[4:5], v[78:79]                    // 000000005D20: D3B1404E 18029D04
	v_pk_mul_f32 v[134:135], v[4:5], v[134:135]                // 000000005D28: D3B14086 18030D04
	v_pk_mul_f32 v[104:105], v[4:5], v[104:105]                // 000000005D30: D3B14068 1802D104
	v_pk_mul_f32 v[160:161], v[4:5], v[160:161]                // 000000005D38: D3B140A0 18034104
	v_pk_mul_f32 v[106:107], v[4:5], v[106:107]                // 000000005D40: D3B1406A 1802D504
	v_pk_mul_f32 v[162:163], v[4:5], v[162:163]                // 000000005D48: D3B140A2 18034504
	v_mov_b32_e32 v4, v38                                      // 000000005D50: 7E080326
	v_mov_b32_e32 v5, v4                                       // 000000005D54: 7E0A0304
	v_pk_mul_f32 v[80:81], v[4:5], v[80:81]                    // 000000005D58: D3B14050 1802A104
	v_pk_mul_f32 v[136:137], v[4:5], v[136:137]                // 000000005D60: D3B14088 18031104
	v_pk_mul_f32 v[82:83], v[4:5], v[82:83]                    // 000000005D68: D3B14052 1802A504
	v_pk_mul_f32 v[138:139], v[4:5], v[138:139]                // 000000005D70: D3B1408A 18031504
	v_pk_mul_f32 v[108:109], v[4:5], v[108:109]                // 000000005D78: D3B1406C 1802D904
	v_pk_mul_f32 v[164:165], v[4:5], v[164:165]                // 000000005D80: D3B140A4 18034904
	v_pk_mul_f32 v[110:111], v[4:5], v[110:111]                // 000000005D88: D3B1406E 1802DD04
	v_pk_mul_f32 v[166:167], v[4:5], v[166:167]                // 000000005D90: D3B140A6 18034D04
	v_mov_b32_e32 v4, v39                                      // 000000005D98: 7E080327
	v_mov_b32_e32 v5, v4                                       // 000000005D9C: 7E0A0304
	v_pk_mul_f32 v[84:85], v[4:5], v[84:85]                    // 000000005DA0: D3B14054 1802A904
	v_pk_mul_f32 v[140:141], v[4:5], v[140:141]                // 000000005DA8: D3B1408C 18031904
	v_pk_mul_f32 v[86:87], v[4:5], v[86:87]                    // 000000005DB0: D3B14056 1802AD04
	v_pk_mul_f32 v[142:143], v[4:5], v[142:143]                // 000000005DB8: D3B1408E 18031D04
	v_pk_mul_f32 v[112:113], v[4:5], v[112:113]                // 000000005DC0: D3B14070 1802E104
	v_pk_mul_f32 v[168:169], v[4:5], v[168:169]                // 000000005DC8: D3B140A8 18035104
	v_pk_mul_f32 v[114:115], v[4:5], v[114:115]                // 000000005DD0: D3B14072 1802E504
	v_pk_mul_f32 v[170:171], v[4:5], v[170:171]                // 000000005DD8: D3B140AA 18035504
	v_mov_b32_e32 v4, v40                                      // 000000005DE0: 7E080328
	v_mov_b32_e32 v5, v4                                       // 000000005DE4: 7E0A0304
	v_pk_mul_f32 v[88:89], v[4:5], v[88:89]                    // 000000005DE8: D3B14058 1802B104
	v_pk_mul_f32 v[144:145], v[4:5], v[144:145]                // 000000005DF0: D3B14090 18032104
	v_pk_mul_f32 v[90:91], v[4:5], v[90:91]                    // 000000005DF8: D3B1405A 1802B504
	v_pk_mul_f32 v[146:147], v[4:5], v[146:147]                // 000000005E00: D3B14092 18032504
	v_pk_mul_f32 v[116:117], v[4:5], v[116:117]                // 000000005E08: D3B14074 1802E904
	v_pk_mul_f32 v[172:173], v[4:5], v[172:173]                // 000000005E10: D3B140AC 18035904
	v_pk_mul_f32 v[118:119], v[4:5], v[118:119]                // 000000005E18: D3B14076 1802ED04
	v_pk_mul_f32 v[174:175], v[4:5], v[174:175]                // 000000005E20: D3B140AE 18035D04
	v_mov_b32_e32 v4, v41                                      // 000000005E28: 7E080329
	v_mov_b32_e32 v5, v4                                       // 000000005E2C: 7E0A0304
	v_pk_mul_f32 v[92:93], v[4:5], v[92:93]                    // 000000005E30: D3B1405C 1802B904
	v_pk_mul_f32 v[148:149], v[4:5], v[148:149]                // 000000005E38: D3B14094 18032904
	v_pk_mul_f32 v[94:95], v[4:5], v[94:95]                    // 000000005E40: D3B1405E 1802BD04
	v_pk_mul_f32 v[150:151], v[4:5], v[150:151]                // 000000005E48: D3B14096 18032D04
	v_pk_mul_f32 v[120:121], v[4:5], v[120:121]                // 000000005E50: D3B14078 1802F104
	v_pk_mul_f32 v[176:177], v[4:5], v[176:177]                // 000000005E58: D3B140B0 18036104
	v_pk_mul_f32 v[122:123], v[4:5], v[122:123]                // 000000005E60: D3B1407A 1802F504
	v_pk_mul_f32 v[178:179], v[4:5], v[178:179]                // 000000005E68: D3B140B2 18036504
	v_mov_b32_e32 v4, v42                                      // 000000005E70: 7E08032A
	v_mov_b32_e32 v5, v4                                       // 000000005E74: 7E0A0304
	v_pk_mul_f32 v[96:97], v[4:5], v[96:97]                    // 000000005E78: D3B14060 1802C104
	v_pk_mul_f32 v[152:153], v[4:5], v[152:153]                // 000000005E80: D3B14098 18033104
	v_pk_mul_f32 v[98:99], v[4:5], v[98:99]                    // 000000005E88: D3B14062 1802C504
	v_pk_mul_f32 v[154:155], v[4:5], v[154:155]                // 000000005E90: D3B1409A 18033504
	v_pk_mul_f32 v[124:125], v[4:5], v[124:125]                // 000000005E98: D3B1407C 1802F904
	v_pk_mul_f32 v[180:181], v[4:5], v[180:181]                // 000000005EA0: D3B140B4 18036904
	v_pk_mul_f32 v[126:127], v[4:5], v[126:127]                // 000000005EA8: D3B1407E 1802FD04
	v_pk_mul_f32 v[182:183], v[4:5], v[182:183]                // 000000005EB0: D3B140B6 18036D04
	v_mov_b32_e32 v4, v43                                      // 000000005EB8: 7E08032B
	v_mov_b32_e32 v5, v4                                       // 000000005EBC: 7E0A0304
	v_pk_mul_f32 v[100:101], v[4:5], v[100:101]                // 000000005EC0: D3B14064 1802C904
	v_pk_mul_f32 v[156:157], v[4:5], v[156:157]                // 000000005EC8: D3B1409C 18033904
	v_pk_mul_f32 v[102:103], v[4:5], v[102:103]                // 000000005ED0: D3B14066 1802CD04
	v_pk_mul_f32 v[158:159], v[4:5], v[158:159]                // 000000005ED8: D3B1409E 18033D04
	v_pk_mul_f32 v[128:129], v[4:5], v[128:129]                // 000000005EE0: D3B14080 18030104
	v_pk_mul_f32 v[184:185], v[4:5], v[184:185]                // 000000005EE8: D3B140B8 18037104
	v_pk_mul_f32 v[130:131], v[4:5], v[130:131]                // 000000005EF0: D3B14082 18030504
	v_pk_mul_f32 v[186:187], v[4:5], v[186:187]                // 000000005EF8: D3B140BA 18037504
	s_cmp_eq_u32 s88, 0                                        // 000000005F00: BF068058
	s_cbranch_scc0 label_157B                                  // 000000005F04: BF840839
	s_cmp_eq_u32 s89, 0                                        // 000000005F08: BF068059
	s_cbranch_scc1 label_0F79                                  // 000000005F0C: BF850235
	v_mov_b32_e32 v8, v1                                       // 000000005F10: 7E100301
	v_mov_b32_e32 v9, v1                                       // 000000005F14: 7E120301
	s_mov_b32 s60, s6                                          // 000000005F18: BEBC0006
	s_mov_b32 s61, s6                                          // 000000005F1C: BEBD0006
	v_pk_mul_f32 v[4:5], v[76:77], v[76:77]                    // 000000005F20: D3B14004 1802994C
	v_pk_mul_f32 v[6:7], v[78:79], v[78:79]                    // 000000005F28: D3B14006 18029D4E
	v_pk_fma_f32 v[4:5], v[4:5], s[78:79], v[8:9]              // 000000005F30: D3B04004 1C209D04
	v_pk_fma_f32 v[6:7], v[6:7], s[78:79], v[8:9]              // 000000005F38: D3B04006 1C209D06
	v_pk_mul_f32 v[4:5], v[4:5], v[76:77]                      // 000000005F40: D3B14004 18029904
	v_pk_mul_f32 v[6:7], v[6:7], v[78:79]                      // 000000005F48: D3B14006 18029D06
	v_pk_mul_f32 v[4:5], v[4:5], s[60:61]                      // 000000005F50: D3B14004 18007904
	v_pk_mul_f32 v[6:7], v[6:7], s[60:61]                      // 000000005F58: D3B14006 18007906
	v_exp_f32_e32 v4, v4                                       // 000000005F60: 7E084104
	v_exp_f32_e32 v5, v5                                       // 000000005F64: 7E0A4105
	v_exp_f32_e32 v6, v6                                       // 000000005F68: 7E0C4106
	v_exp_f32_e32 v7, v7                                       // 000000005F6C: 7E0E4107
	v_add_f32_e64 v4, v4, 1.0                                  // 000000005F70: D1010004 0001E504
	v_add_f32_e64 v5, v5, 1.0                                  // 000000005F78: D1010005 0001E505
	v_add_f32_e64 v6, v6, 1.0                                  // 000000005F80: D1010006 0001E506
	v_add_f32_e64 v7, v7, 1.0                                  // 000000005F88: D1010007 0001E507
	v_rcp_f32_e32 v4, v4                                       // 000000005F90: 7E084504
	v_rcp_f32_e32 v5, v5                                       // 000000005F94: 7E0A4505
	v_rcp_f32_e32 v6, v6                                       // 000000005F98: 7E0C4506
	v_rcp_f32_e32 v7, v7                                       // 000000005F9C: 7E0E4507
	v_mul_f32_e32 v76, v76, v4                                 // 000000005FA0: 0A98094C
	v_mul_f32_e32 v77, v77, v5                                 // 000000005FA4: 0A9A0B4D
	v_mul_f32_e32 v78, v78, v6                                 // 000000005FA8: 0A9C0D4E
	v_mul_f32_e32 v79, v79, v7                                 // 000000005FAC: 0A9E0F4F
	v_mul_f32_e32 v76, v76, v132                               // 000000005FB0: 0A99094C
	v_mul_f32_e32 v77, v77, v133                               // 000000005FB4: 0A9B0B4D
	v_mul_f32_e32 v78, v78, v134                               // 000000005FB8: 0A9D0D4E
	v_mul_f32_e32 v79, v79, v135                               // 000000005FBC: 0A9F0F4F
	v_pk_mul_f32 v[4:5], v[80:81], v[80:81]                    // 000000005FC0: D3B14004 1802A150
	v_pk_mul_f32 v[6:7], v[82:83], v[82:83]                    // 000000005FC8: D3B14006 1802A552
	v_pk_fma_f32 v[4:5], v[4:5], s[78:79], v[8:9]              // 000000005FD0: D3B04004 1C209D04
	v_pk_fma_f32 v[6:7], v[6:7], s[78:79], v[8:9]              // 000000005FD8: D3B04006 1C209D06
	v_pk_mul_f32 v[4:5], v[4:5], v[80:81]                      // 000000005FE0: D3B14004 1802A104
	v_pk_mul_f32 v[6:7], v[6:7], v[82:83]                      // 000000005FE8: D3B14006 1802A506
	v_pk_mul_f32 v[4:5], v[4:5], s[60:61]                      // 000000005FF0: D3B14004 18007904
	v_pk_mul_f32 v[6:7], v[6:7], s[60:61]                      // 000000005FF8: D3B14006 18007906
	v_exp_f32_e32 v4, v4                                       // 000000006000: 7E084104
	v_exp_f32_e32 v5, v5                                       // 000000006004: 7E0A4105
	v_exp_f32_e32 v6, v6                                       // 000000006008: 7E0C4106
	v_exp_f32_e32 v7, v7                                       // 00000000600C: 7E0E4107
	v_add_f32_e64 v4, v4, 1.0                                  // 000000006010: D1010004 0001E504
	v_add_f32_e64 v5, v5, 1.0                                  // 000000006018: D1010005 0001E505
	v_add_f32_e64 v6, v6, 1.0                                  // 000000006020: D1010006 0001E506
	v_add_f32_e64 v7, v7, 1.0                                  // 000000006028: D1010007 0001E507
	v_rcp_f32_e32 v4, v4                                       // 000000006030: 7E084504
	v_rcp_f32_e32 v5, v5                                       // 000000006034: 7E0A4505
	v_rcp_f32_e32 v6, v6                                       // 000000006038: 7E0C4506
	v_rcp_f32_e32 v7, v7                                       // 00000000603C: 7E0E4507
	v_mul_f32_e32 v80, v80, v4                                 // 000000006040: 0AA00950
	v_mul_f32_e32 v81, v81, v5                                 // 000000006044: 0AA20B51
	v_mul_f32_e32 v82, v82, v6                                 // 000000006048: 0AA40D52
	v_mul_f32_e32 v83, v83, v7                                 // 00000000604C: 0AA60F53
	v_mul_f32_e32 v80, v80, v136                               // 000000006050: 0AA11150
	v_mul_f32_e32 v81, v81, v137                               // 000000006054: 0AA31351
	v_mul_f32_e32 v82, v82, v138                               // 000000006058: 0AA51552
	v_mul_f32_e32 v83, v83, v139                               // 00000000605C: 0AA71753
	v_pk_mul_f32 v[4:5], v[84:85], v[84:85]                    // 000000006060: D3B14004 1802A954
	v_pk_mul_f32 v[6:7], v[86:87], v[86:87]                    // 000000006068: D3B14006 1802AD56
	v_pk_fma_f32 v[4:5], v[4:5], s[78:79], v[8:9]              // 000000006070: D3B04004 1C209D04
	v_pk_fma_f32 v[6:7], v[6:7], s[78:79], v[8:9]              // 000000006078: D3B04006 1C209D06
	v_pk_mul_f32 v[4:5], v[4:5], v[84:85]                      // 000000006080: D3B14004 1802A904
	v_pk_mul_f32 v[6:7], v[6:7], v[86:87]                      // 000000006088: D3B14006 1802AD06
	v_pk_mul_f32 v[4:5], v[4:5], s[60:61]                      // 000000006090: D3B14004 18007904
	v_pk_mul_f32 v[6:7], v[6:7], s[60:61]                      // 000000006098: D3B14006 18007906
	v_exp_f32_e32 v4, v4                                       // 0000000060A0: 7E084104
	v_exp_f32_e32 v5, v5                                       // 0000000060A4: 7E0A4105
	v_exp_f32_e32 v6, v6                                       // 0000000060A8: 7E0C4106
	v_exp_f32_e32 v7, v7                                       // 0000000060AC: 7E0E4107
	v_add_f32_e64 v4, v4, 1.0                                  // 0000000060B0: D1010004 0001E504
	v_add_f32_e64 v5, v5, 1.0                                  // 0000000060B8: D1010005 0001E505
	v_add_f32_e64 v6, v6, 1.0                                  // 0000000060C0: D1010006 0001E506
	v_add_f32_e64 v7, v7, 1.0                                  // 0000000060C8: D1010007 0001E507
	v_rcp_f32_e32 v4, v4                                       // 0000000060D0: 7E084504
	v_rcp_f32_e32 v5, v5                                       // 0000000060D4: 7E0A4505
	v_rcp_f32_e32 v6, v6                                       // 0000000060D8: 7E0C4506
	v_rcp_f32_e32 v7, v7                                       // 0000000060DC: 7E0E4507
	v_mul_f32_e32 v84, v84, v4                                 // 0000000060E0: 0AA80954
	v_mul_f32_e32 v85, v85, v5                                 // 0000000060E4: 0AAA0B55
	v_mul_f32_e32 v86, v86, v6                                 // 0000000060E8: 0AAC0D56
	v_mul_f32_e32 v87, v87, v7                                 // 0000000060EC: 0AAE0F57
	v_mul_f32_e32 v84, v84, v140                               // 0000000060F0: 0AA91954
	v_mul_f32_e32 v85, v85, v141                               // 0000000060F4: 0AAB1B55
	v_mul_f32_e32 v86, v86, v142                               // 0000000060F8: 0AAD1D56
	v_mul_f32_e32 v87, v87, v143                               // 0000000060FC: 0AAF1F57
	v_pk_mul_f32 v[4:5], v[88:89], v[88:89]                    // 000000006100: D3B14004 1802B158
	v_pk_mul_f32 v[6:7], v[90:91], v[90:91]                    // 000000006108: D3B14006 1802B55A
	v_pk_fma_f32 v[4:5], v[4:5], s[78:79], v[8:9]              // 000000006110: D3B04004 1C209D04
	v_pk_fma_f32 v[6:7], v[6:7], s[78:79], v[8:9]              // 000000006118: D3B04006 1C209D06
	v_pk_mul_f32 v[4:5], v[4:5], v[88:89]                      // 000000006120: D3B14004 1802B104
	v_pk_mul_f32 v[6:7], v[6:7], v[90:91]                      // 000000006128: D3B14006 1802B506
	v_pk_mul_f32 v[4:5], v[4:5], s[60:61]                      // 000000006130: D3B14004 18007904
	v_pk_mul_f32 v[6:7], v[6:7], s[60:61]                      // 000000006138: D3B14006 18007906
	v_exp_f32_e32 v4, v4                                       // 000000006140: 7E084104
	v_exp_f32_e32 v5, v5                                       // 000000006144: 7E0A4105
	v_exp_f32_e32 v6, v6                                       // 000000006148: 7E0C4106
	v_exp_f32_e32 v7, v7                                       // 00000000614C: 7E0E4107
	v_add_f32_e64 v4, v4, 1.0                                  // 000000006150: D1010004 0001E504
	v_add_f32_e64 v5, v5, 1.0                                  // 000000006158: D1010005 0001E505
	v_add_f32_e64 v6, v6, 1.0                                  // 000000006160: D1010006 0001E506
	v_add_f32_e64 v7, v7, 1.0                                  // 000000006168: D1010007 0001E507
	v_rcp_f32_e32 v4, v4                                       // 000000006170: 7E084504
	v_rcp_f32_e32 v5, v5                                       // 000000006174: 7E0A4505
	v_rcp_f32_e32 v6, v6                                       // 000000006178: 7E0C4506
	v_rcp_f32_e32 v7, v7                                       // 00000000617C: 7E0E4507
	v_mul_f32_e32 v88, v88, v4                                 // 000000006180: 0AB00958
	v_mul_f32_e32 v89, v89, v5                                 // 000000006184: 0AB20B59
	v_mul_f32_e32 v90, v90, v6                                 // 000000006188: 0AB40D5A
	v_mul_f32_e32 v91, v91, v7                                 // 00000000618C: 0AB60F5B
	v_mul_f32_e32 v88, v88, v144                               // 000000006190: 0AB12158
	v_mul_f32_e32 v89, v89, v145                               // 000000006194: 0AB32359
	v_mul_f32_e32 v90, v90, v146                               // 000000006198: 0AB5255A
	v_mul_f32_e32 v91, v91, v147                               // 00000000619C: 0AB7275B
	v_pk_mul_f32 v[4:5], v[92:93], v[92:93]                    // 0000000061A0: D3B14004 1802B95C
	v_pk_mul_f32 v[6:7], v[94:95], v[94:95]                    // 0000000061A8: D3B14006 1802BD5E
	v_pk_fma_f32 v[4:5], v[4:5], s[78:79], v[8:9]              // 0000000061B0: D3B04004 1C209D04
	v_pk_fma_f32 v[6:7], v[6:7], s[78:79], v[8:9]              // 0000000061B8: D3B04006 1C209D06
	v_pk_mul_f32 v[4:5], v[4:5], v[92:93]                      // 0000000061C0: D3B14004 1802B904
	v_pk_mul_f32 v[6:7], v[6:7], v[94:95]                      // 0000000061C8: D3B14006 1802BD06
	v_pk_mul_f32 v[4:5], v[4:5], s[60:61]                      // 0000000061D0: D3B14004 18007904
	v_pk_mul_f32 v[6:7], v[6:7], s[60:61]                      // 0000000061D8: D3B14006 18007906
	v_exp_f32_e32 v4, v4                                       // 0000000061E0: 7E084104
	v_exp_f32_e32 v5, v5                                       // 0000000061E4: 7E0A4105
	v_exp_f32_e32 v6, v6                                       // 0000000061E8: 7E0C4106
	v_exp_f32_e32 v7, v7                                       // 0000000061EC: 7E0E4107
	v_add_f32_e64 v4, v4, 1.0                                  // 0000000061F0: D1010004 0001E504
	v_add_f32_e64 v5, v5, 1.0                                  // 0000000061F8: D1010005 0001E505
	v_add_f32_e64 v6, v6, 1.0                                  // 000000006200: D1010006 0001E506
	v_add_f32_e64 v7, v7, 1.0                                  // 000000006208: D1010007 0001E507
	v_rcp_f32_e32 v4, v4                                       // 000000006210: 7E084504
	v_rcp_f32_e32 v5, v5                                       // 000000006214: 7E0A4505
	v_rcp_f32_e32 v6, v6                                       // 000000006218: 7E0C4506
	v_rcp_f32_e32 v7, v7                                       // 00000000621C: 7E0E4507
	v_mul_f32_e32 v92, v92, v4                                 // 000000006220: 0AB8095C
	v_mul_f32_e32 v93, v93, v5                                 // 000000006224: 0ABA0B5D
	v_mul_f32_e32 v94, v94, v6                                 // 000000006228: 0ABC0D5E
	v_mul_f32_e32 v95, v95, v7                                 // 00000000622C: 0ABE0F5F
	v_mul_f32_e32 v92, v92, v148                               // 000000006230: 0AB9295C
	v_mul_f32_e32 v93, v93, v149                               // 000000006234: 0ABB2B5D
	v_mul_f32_e32 v94, v94, v150                               // 000000006238: 0ABD2D5E
	v_mul_f32_e32 v95, v95, v151                               // 00000000623C: 0ABF2F5F
	v_pk_mul_f32 v[4:5], v[96:97], v[96:97]                    // 000000006240: D3B14004 1802C160
	v_pk_mul_f32 v[6:7], v[98:99], v[98:99]                    // 000000006248: D3B14006 1802C562
	v_pk_fma_f32 v[4:5], v[4:5], s[78:79], v[8:9]              // 000000006250: D3B04004 1C209D04
	v_pk_fma_f32 v[6:7], v[6:7], s[78:79], v[8:9]              // 000000006258: D3B04006 1C209D06
	v_pk_mul_f32 v[4:5], v[4:5], v[96:97]                      // 000000006260: D3B14004 1802C104
	v_pk_mul_f32 v[6:7], v[6:7], v[98:99]                      // 000000006268: D3B14006 1802C506
	v_pk_mul_f32 v[4:5], v[4:5], s[60:61]                      // 000000006270: D3B14004 18007904
	v_pk_mul_f32 v[6:7], v[6:7], s[60:61]                      // 000000006278: D3B14006 18007906
	v_exp_f32_e32 v4, v4                                       // 000000006280: 7E084104
	v_exp_f32_e32 v5, v5                                       // 000000006284: 7E0A4105
	v_exp_f32_e32 v6, v6                                       // 000000006288: 7E0C4106
	v_exp_f32_e32 v7, v7                                       // 00000000628C: 7E0E4107
	v_add_f32_e64 v4, v4, 1.0                                  // 000000006290: D1010004 0001E504
	v_add_f32_e64 v5, v5, 1.0                                  // 000000006298: D1010005 0001E505
	v_add_f32_e64 v6, v6, 1.0                                  // 0000000062A0: D1010006 0001E506
	v_add_f32_e64 v7, v7, 1.0                                  // 0000000062A8: D1010007 0001E507
	v_rcp_f32_e32 v4, v4                                       // 0000000062B0: 7E084504
	v_rcp_f32_e32 v5, v5                                       // 0000000062B4: 7E0A4505
	v_rcp_f32_e32 v6, v6                                       // 0000000062B8: 7E0C4506
	v_rcp_f32_e32 v7, v7                                       // 0000000062BC: 7E0E4507
	v_mul_f32_e32 v96, v96, v4                                 // 0000000062C0: 0AC00960
	v_mul_f32_e32 v97, v97, v5                                 // 0000000062C4: 0AC20B61
	v_mul_f32_e32 v98, v98, v6                                 // 0000000062C8: 0AC40D62
	v_mul_f32_e32 v99, v99, v7                                 // 0000000062CC: 0AC60F63
	v_mul_f32_e32 v96, v96, v152                               // 0000000062D0: 0AC13160
	v_mul_f32_e32 v97, v97, v153                               // 0000000062D4: 0AC33361
	v_mul_f32_e32 v98, v98, v154                               // 0000000062D8: 0AC53562
	v_mul_f32_e32 v99, v99, v155                               // 0000000062DC: 0AC73763
	v_pk_mul_f32 v[4:5], v[100:101], v[100:101]                // 0000000062E0: D3B14004 1802C964
	v_pk_mul_f32 v[6:7], v[102:103], v[102:103]                // 0000000062E8: D3B14006 1802CD66
	v_pk_fma_f32 v[4:5], v[4:5], s[78:79], v[8:9]              // 0000000062F0: D3B04004 1C209D04
	v_pk_fma_f32 v[6:7], v[6:7], s[78:79], v[8:9]              // 0000000062F8: D3B04006 1C209D06
	v_pk_mul_f32 v[4:5], v[4:5], v[100:101]                    // 000000006300: D3B14004 1802C904
	v_pk_mul_f32 v[6:7], v[6:7], v[102:103]                    // 000000006308: D3B14006 1802CD06
	v_pk_mul_f32 v[4:5], v[4:5], s[60:61]                      // 000000006310: D3B14004 18007904
	v_pk_mul_f32 v[6:7], v[6:7], s[60:61]                      // 000000006318: D3B14006 18007906
	v_exp_f32_e32 v4, v4                                       // 000000006320: 7E084104
	v_exp_f32_e32 v5, v5                                       // 000000006324: 7E0A4105
	v_exp_f32_e32 v6, v6                                       // 000000006328: 7E0C4106
	v_exp_f32_e32 v7, v7                                       // 00000000632C: 7E0E4107
	v_add_f32_e64 v4, v4, 1.0                                  // 000000006330: D1010004 0001E504
	v_add_f32_e64 v5, v5, 1.0                                  // 000000006338: D1010005 0001E505
	v_add_f32_e64 v6, v6, 1.0                                  // 000000006340: D1010006 0001E506
	v_add_f32_e64 v7, v7, 1.0                                  // 000000006348: D1010007 0001E507
	v_rcp_f32_e32 v4, v4                                       // 000000006350: 7E084504
	v_rcp_f32_e32 v5, v5                                       // 000000006354: 7E0A4505
	v_rcp_f32_e32 v6, v6                                       // 000000006358: 7E0C4506
	v_rcp_f32_e32 v7, v7                                       // 00000000635C: 7E0E4507
	v_mul_f32_e32 v100, v100, v4                               // 000000006360: 0AC80964
	v_mul_f32_e32 v101, v101, v5                               // 000000006364: 0ACA0B65
	v_mul_f32_e32 v102, v102, v6                               // 000000006368: 0ACC0D66
	v_mul_f32_e32 v103, v103, v7                               // 00000000636C: 0ACE0F67
	v_mul_f32_e32 v100, v100, v156                             // 000000006370: 0AC93964
	v_mul_f32_e32 v101, v101, v157                             // 000000006374: 0ACB3B65
	v_mul_f32_e32 v102, v102, v158                             // 000000006378: 0ACD3D66
	v_mul_f32_e32 v103, v103, v159                             // 00000000637C: 0ACF3F67
	v_pk_mul_f32 v[4:5], v[104:105], v[104:105]                // 000000006380: D3B14004 1802D168
	v_pk_mul_f32 v[6:7], v[106:107], v[106:107]                // 000000006388: D3B14006 1802D56A
	v_pk_fma_f32 v[4:5], v[4:5], s[78:79], v[8:9]              // 000000006390: D3B04004 1C209D04
	v_pk_fma_f32 v[6:7], v[6:7], s[78:79], v[8:9]              // 000000006398: D3B04006 1C209D06
	v_pk_mul_f32 v[4:5], v[4:5], v[104:105]                    // 0000000063A0: D3B14004 1802D104
	v_pk_mul_f32 v[6:7], v[6:7], v[106:107]                    // 0000000063A8: D3B14006 1802D506
	v_pk_mul_f32 v[4:5], v[4:5], s[60:61]                      // 0000000063B0: D3B14004 18007904
	v_pk_mul_f32 v[6:7], v[6:7], s[60:61]                      // 0000000063B8: D3B14006 18007906
	v_exp_f32_e32 v4, v4                                       // 0000000063C0: 7E084104
	v_exp_f32_e32 v5, v5                                       // 0000000063C4: 7E0A4105
	v_exp_f32_e32 v6, v6                                       // 0000000063C8: 7E0C4106
	v_exp_f32_e32 v7, v7                                       // 0000000063CC: 7E0E4107
	v_add_f32_e64 v4, v4, 1.0                                  // 0000000063D0: D1010004 0001E504
	v_add_f32_e64 v5, v5, 1.0                                  // 0000000063D8: D1010005 0001E505
	v_add_f32_e64 v6, v6, 1.0                                  // 0000000063E0: D1010006 0001E506
	v_add_f32_e64 v7, v7, 1.0                                  // 0000000063E8: D1010007 0001E507
	v_rcp_f32_e32 v4, v4                                       // 0000000063F0: 7E084504
	v_rcp_f32_e32 v5, v5                                       // 0000000063F4: 7E0A4505
	v_rcp_f32_e32 v6, v6                                       // 0000000063F8: 7E0C4506
	v_rcp_f32_e32 v7, v7                                       // 0000000063FC: 7E0E4507
	v_mul_f32_e32 v104, v104, v4                               // 000000006400: 0AD00968
	v_mul_f32_e32 v105, v105, v5                               // 000000006404: 0AD20B69
	v_mul_f32_e32 v106, v106, v6                               // 000000006408: 0AD40D6A
	v_mul_f32_e32 v107, v107, v7                               // 00000000640C: 0AD60F6B
	v_mul_f32_e32 v104, v104, v160                             // 000000006410: 0AD14168
	v_mul_f32_e32 v105, v105, v161                             // 000000006414: 0AD34369
	v_mul_f32_e32 v106, v106, v162                             // 000000006418: 0AD5456A
	v_mul_f32_e32 v107, v107, v163                             // 00000000641C: 0AD7476B
	v_pk_mul_f32 v[4:5], v[108:109], v[108:109]                // 000000006420: D3B14004 1802D96C
	v_pk_mul_f32 v[6:7], v[110:111], v[110:111]                // 000000006428: D3B14006 1802DD6E
	v_pk_fma_f32 v[4:5], v[4:5], s[78:79], v[8:9]              // 000000006430: D3B04004 1C209D04
	v_pk_fma_f32 v[6:7], v[6:7], s[78:79], v[8:9]              // 000000006438: D3B04006 1C209D06
	v_pk_mul_f32 v[4:5], v[4:5], v[108:109]                    // 000000006440: D3B14004 1802D904
	v_pk_mul_f32 v[6:7], v[6:7], v[110:111]                    // 000000006448: D3B14006 1802DD06
	v_pk_mul_f32 v[4:5], v[4:5], s[60:61]                      // 000000006450: D3B14004 18007904
	v_pk_mul_f32 v[6:7], v[6:7], s[60:61]                      // 000000006458: D3B14006 18007906
	v_exp_f32_e32 v4, v4                                       // 000000006460: 7E084104
	v_exp_f32_e32 v5, v5                                       // 000000006464: 7E0A4105
	v_exp_f32_e32 v6, v6                                       // 000000006468: 7E0C4106
	v_exp_f32_e32 v7, v7                                       // 00000000646C: 7E0E4107
	v_add_f32_e64 v4, v4, 1.0                                  // 000000006470: D1010004 0001E504
	v_add_f32_e64 v5, v5, 1.0                                  // 000000006478: D1010005 0001E505
	v_add_f32_e64 v6, v6, 1.0                                  // 000000006480: D1010006 0001E506
	v_add_f32_e64 v7, v7, 1.0                                  // 000000006488: D1010007 0001E507
	v_rcp_f32_e32 v4, v4                                       // 000000006490: 7E084504
	v_rcp_f32_e32 v5, v5                                       // 000000006494: 7E0A4505
	v_rcp_f32_e32 v6, v6                                       // 000000006498: 7E0C4506
	v_rcp_f32_e32 v7, v7                                       // 00000000649C: 7E0E4507
	v_mul_f32_e32 v108, v108, v4                               // 0000000064A0: 0AD8096C
	v_mul_f32_e32 v109, v109, v5                               // 0000000064A4: 0ADA0B6D
	v_mul_f32_e32 v110, v110, v6                               // 0000000064A8: 0ADC0D6E
	v_mul_f32_e32 v111, v111, v7                               // 0000000064AC: 0ADE0F6F
	v_mul_f32_e32 v108, v108, v164                             // 0000000064B0: 0AD9496C
	v_mul_f32_e32 v109, v109, v165                             // 0000000064B4: 0ADB4B6D
	v_mul_f32_e32 v110, v110, v166                             // 0000000064B8: 0ADD4D6E
	v_mul_f32_e32 v111, v111, v167                             // 0000000064BC: 0ADF4F6F
	v_pk_mul_f32 v[4:5], v[112:113], v[112:113]                // 0000000064C0: D3B14004 1802E170
	v_pk_mul_f32 v[6:7], v[114:115], v[114:115]                // 0000000064C8: D3B14006 1802E572
	v_pk_fma_f32 v[4:5], v[4:5], s[78:79], v[8:9]              // 0000000064D0: D3B04004 1C209D04
	v_pk_fma_f32 v[6:7], v[6:7], s[78:79], v[8:9]              // 0000000064D8: D3B04006 1C209D06
	v_pk_mul_f32 v[4:5], v[4:5], v[112:113]                    // 0000000064E0: D3B14004 1802E104
	v_pk_mul_f32 v[6:7], v[6:7], v[114:115]                    // 0000000064E8: D3B14006 1802E506
	v_pk_mul_f32 v[4:5], v[4:5], s[60:61]                      // 0000000064F0: D3B14004 18007904
	v_pk_mul_f32 v[6:7], v[6:7], s[60:61]                      // 0000000064F8: D3B14006 18007906
	v_exp_f32_e32 v4, v4                                       // 000000006500: 7E084104
	v_exp_f32_e32 v5, v5                                       // 000000006504: 7E0A4105
	v_exp_f32_e32 v6, v6                                       // 000000006508: 7E0C4106
	v_exp_f32_e32 v7, v7                                       // 00000000650C: 7E0E4107
	v_add_f32_e64 v4, v4, 1.0                                  // 000000006510: D1010004 0001E504
	v_add_f32_e64 v5, v5, 1.0                                  // 000000006518: D1010005 0001E505
	v_add_f32_e64 v6, v6, 1.0                                  // 000000006520: D1010006 0001E506
	v_add_f32_e64 v7, v7, 1.0                                  // 000000006528: D1010007 0001E507
	v_rcp_f32_e32 v4, v4                                       // 000000006530: 7E084504
	v_rcp_f32_e32 v5, v5                                       // 000000006534: 7E0A4505
	v_rcp_f32_e32 v6, v6                                       // 000000006538: 7E0C4506
	v_rcp_f32_e32 v7, v7                                       // 00000000653C: 7E0E4507
	v_mul_f32_e32 v112, v112, v4                               // 000000006540: 0AE00970
	v_mul_f32_e32 v113, v113, v5                               // 000000006544: 0AE20B71
	v_mul_f32_e32 v114, v114, v6                               // 000000006548: 0AE40D72
	v_mul_f32_e32 v115, v115, v7                               // 00000000654C: 0AE60F73
	v_mul_f32_e32 v112, v112, v168                             // 000000006550: 0AE15170
	v_mul_f32_e32 v113, v113, v169                             // 000000006554: 0AE35371
	v_mul_f32_e32 v114, v114, v170                             // 000000006558: 0AE55572
	v_mul_f32_e32 v115, v115, v171                             // 00000000655C: 0AE75773
	v_pk_mul_f32 v[4:5], v[116:117], v[116:117]                // 000000006560: D3B14004 1802E974
	v_pk_mul_f32 v[6:7], v[118:119], v[118:119]                // 000000006568: D3B14006 1802ED76
	v_pk_fma_f32 v[4:5], v[4:5], s[78:79], v[8:9]              // 000000006570: D3B04004 1C209D04
	v_pk_fma_f32 v[6:7], v[6:7], s[78:79], v[8:9]              // 000000006578: D3B04006 1C209D06
	v_pk_mul_f32 v[4:5], v[4:5], v[116:117]                    // 000000006580: D3B14004 1802E904
	v_pk_mul_f32 v[6:7], v[6:7], v[118:119]                    // 000000006588: D3B14006 1802ED06
	v_pk_mul_f32 v[4:5], v[4:5], s[60:61]                      // 000000006590: D3B14004 18007904
	v_pk_mul_f32 v[6:7], v[6:7], s[60:61]                      // 000000006598: D3B14006 18007906
	v_exp_f32_e32 v4, v4                                       // 0000000065A0: 7E084104
	v_exp_f32_e32 v5, v5                                       // 0000000065A4: 7E0A4105
	v_exp_f32_e32 v6, v6                                       // 0000000065A8: 7E0C4106
	v_exp_f32_e32 v7, v7                                       // 0000000065AC: 7E0E4107
	v_add_f32_e64 v4, v4, 1.0                                  // 0000000065B0: D1010004 0001E504
	v_add_f32_e64 v5, v5, 1.0                                  // 0000000065B8: D1010005 0001E505
	v_add_f32_e64 v6, v6, 1.0                                  // 0000000065C0: D1010006 0001E506
	v_add_f32_e64 v7, v7, 1.0                                  // 0000000065C8: D1010007 0001E507
	v_rcp_f32_e32 v4, v4                                       // 0000000065D0: 7E084504
	v_rcp_f32_e32 v5, v5                                       // 0000000065D4: 7E0A4505
	v_rcp_f32_e32 v6, v6                                       // 0000000065D8: 7E0C4506
	v_rcp_f32_e32 v7, v7                                       // 0000000065DC: 7E0E4507
	v_mul_f32_e32 v116, v116, v4                               // 0000000065E0: 0AE80974
	v_mul_f32_e32 v117, v117, v5                               // 0000000065E4: 0AEA0B75
	v_mul_f32_e32 v118, v118, v6                               // 0000000065E8: 0AEC0D76
	v_mul_f32_e32 v119, v119, v7                               // 0000000065EC: 0AEE0F77
	v_mul_f32_e32 v116, v116, v172                             // 0000000065F0: 0AE95974
	v_mul_f32_e32 v117, v117, v173                             // 0000000065F4: 0AEB5B75
	v_mul_f32_e32 v118, v118, v174                             // 0000000065F8: 0AED5D76
	v_mul_f32_e32 v119, v119, v175                             // 0000000065FC: 0AEF5F77
	v_pk_mul_f32 v[4:5], v[120:121], v[120:121]                // 000000006600: D3B14004 1802F178
	v_pk_mul_f32 v[6:7], v[122:123], v[122:123]                // 000000006608: D3B14006 1802F57A
	v_pk_fma_f32 v[4:5], v[4:5], s[78:79], v[8:9]              // 000000006610: D3B04004 1C209D04
	v_pk_fma_f32 v[6:7], v[6:7], s[78:79], v[8:9]              // 000000006618: D3B04006 1C209D06
	v_pk_mul_f32 v[4:5], v[4:5], v[120:121]                    // 000000006620: D3B14004 1802F104
	v_pk_mul_f32 v[6:7], v[6:7], v[122:123]                    // 000000006628: D3B14006 1802F506
	v_pk_mul_f32 v[4:5], v[4:5], s[60:61]                      // 000000006630: D3B14004 18007904
	v_pk_mul_f32 v[6:7], v[6:7], s[60:61]                      // 000000006638: D3B14006 18007906
	v_exp_f32_e32 v4, v4                                       // 000000006640: 7E084104
	v_exp_f32_e32 v5, v5                                       // 000000006644: 7E0A4105
	v_exp_f32_e32 v6, v6                                       // 000000006648: 7E0C4106
	v_exp_f32_e32 v7, v7                                       // 00000000664C: 7E0E4107
	v_add_f32_e64 v4, v4, 1.0                                  // 000000006650: D1010004 0001E504
	v_add_f32_e64 v5, v5, 1.0                                  // 000000006658: D1010005 0001E505
	v_add_f32_e64 v6, v6, 1.0                                  // 000000006660: D1010006 0001E506
	v_add_f32_e64 v7, v7, 1.0                                  // 000000006668: D1010007 0001E507
	v_rcp_f32_e32 v4, v4                                       // 000000006670: 7E084504
	v_rcp_f32_e32 v5, v5                                       // 000000006674: 7E0A4505
	v_rcp_f32_e32 v6, v6                                       // 000000006678: 7E0C4506
	v_rcp_f32_e32 v7, v7                                       // 00000000667C: 7E0E4507
	v_mul_f32_e32 v120, v120, v4                               // 000000006680: 0AF00978
	v_mul_f32_e32 v121, v121, v5                               // 000000006684: 0AF20B79
	v_mul_f32_e32 v122, v122, v6                               // 000000006688: 0AF40D7A
	v_mul_f32_e32 v123, v123, v7                               // 00000000668C: 0AF60F7B
	v_mul_f32_e32 v120, v120, v176                             // 000000006690: 0AF16178
	v_mul_f32_e32 v121, v121, v177                             // 000000006694: 0AF36379
	v_mul_f32_e32 v122, v122, v178                             // 000000006698: 0AF5657A
	v_mul_f32_e32 v123, v123, v179                             // 00000000669C: 0AF7677B
	v_pk_mul_f32 v[4:5], v[124:125], v[124:125]                // 0000000066A0: D3B14004 1802F97C
	v_pk_mul_f32 v[6:7], v[126:127], v[126:127]                // 0000000066A8: D3B14006 1802FD7E
	v_pk_fma_f32 v[4:5], v[4:5], s[78:79], v[8:9]              // 0000000066B0: D3B04004 1C209D04
	v_pk_fma_f32 v[6:7], v[6:7], s[78:79], v[8:9]              // 0000000066B8: D3B04006 1C209D06
	v_pk_mul_f32 v[4:5], v[4:5], v[124:125]                    // 0000000066C0: D3B14004 1802F904
	v_pk_mul_f32 v[6:7], v[6:7], v[126:127]                    // 0000000066C8: D3B14006 1802FD06
	v_pk_mul_f32 v[4:5], v[4:5], s[60:61]                      // 0000000066D0: D3B14004 18007904
	v_pk_mul_f32 v[6:7], v[6:7], s[60:61]                      // 0000000066D8: D3B14006 18007906
	v_exp_f32_e32 v4, v4                                       // 0000000066E0: 7E084104
	v_exp_f32_e32 v5, v5                                       // 0000000066E4: 7E0A4105
	v_exp_f32_e32 v6, v6                                       // 0000000066E8: 7E0C4106
	v_exp_f32_e32 v7, v7                                       // 0000000066EC: 7E0E4107
	v_add_f32_e64 v4, v4, 1.0                                  // 0000000066F0: D1010004 0001E504
	v_add_f32_e64 v5, v5, 1.0                                  // 0000000066F8: D1010005 0001E505
	v_add_f32_e64 v6, v6, 1.0                                  // 000000006700: D1010006 0001E506
	v_add_f32_e64 v7, v7, 1.0                                  // 000000006708: D1010007 0001E507
	v_rcp_f32_e32 v4, v4                                       // 000000006710: 7E084504
	v_rcp_f32_e32 v5, v5                                       // 000000006714: 7E0A4505
	v_rcp_f32_e32 v6, v6                                       // 000000006718: 7E0C4506
	v_rcp_f32_e32 v7, v7                                       // 00000000671C: 7E0E4507
	v_mul_f32_e32 v124, v124, v4                               // 000000006720: 0AF8097C
	v_mul_f32_e32 v125, v125, v5                               // 000000006724: 0AFA0B7D
	v_mul_f32_e32 v126, v126, v6                               // 000000006728: 0AFC0D7E
	v_mul_f32_e32 v127, v127, v7                               // 00000000672C: 0AFE0F7F
	v_mul_f32_e32 v124, v124, v180                             // 000000006730: 0AF9697C
	v_mul_f32_e32 v125, v125, v181                             // 000000006734: 0AFB6B7D
	v_mul_f32_e32 v126, v126, v182                             // 000000006738: 0AFD6D7E
	v_mul_f32_e32 v127, v127, v183                             // 00000000673C: 0AFF6F7F
	v_pk_mul_f32 v[4:5], v[128:129], v[128:129]                // 000000006740: D3B14004 18030180
	v_pk_mul_f32 v[6:7], v[130:131], v[130:131]                // 000000006748: D3B14006 18030582
	v_pk_fma_f32 v[4:5], v[4:5], s[78:79], v[8:9]              // 000000006750: D3B04004 1C209D04
	v_pk_fma_f32 v[6:7], v[6:7], s[78:79], v[8:9]              // 000000006758: D3B04006 1C209D06
	v_pk_mul_f32 v[4:5], v[4:5], v[128:129]                    // 000000006760: D3B14004 18030104
	v_pk_mul_f32 v[6:7], v[6:7], v[130:131]                    // 000000006768: D3B14006 18030506
	v_pk_mul_f32 v[4:5], v[4:5], s[60:61]                      // 000000006770: D3B14004 18007904
	v_pk_mul_f32 v[6:7], v[6:7], s[60:61]                      // 000000006778: D3B14006 18007906
	v_exp_f32_e32 v4, v4                                       // 000000006780: 7E084104
	v_exp_f32_e32 v5, v5                                       // 000000006784: 7E0A4105
	v_exp_f32_e32 v6, v6                                       // 000000006788: 7E0C4106
	v_exp_f32_e32 v7, v7                                       // 00000000678C: 7E0E4107
	v_add_f32_e64 v4, v4, 1.0                                  // 000000006790: D1010004 0001E504
	v_add_f32_e64 v5, v5, 1.0                                  // 000000006798: D1010005 0001E505
	v_add_f32_e64 v6, v6, 1.0                                  // 0000000067A0: D1010006 0001E506
	v_add_f32_e64 v7, v7, 1.0                                  // 0000000067A8: D1010007 0001E507
	v_rcp_f32_e32 v4, v4                                       // 0000000067B0: 7E084504
	v_rcp_f32_e32 v5, v5                                       // 0000000067B4: 7E0A4505
	v_rcp_f32_e32 v6, v6                                       // 0000000067B8: 7E0C4506
	v_rcp_f32_e32 v7, v7                                       // 0000000067BC: 7E0E4507
	v_mul_f32_e32 v128, v128, v4                               // 0000000067C0: 0B000980
	v_mul_f32_e32 v129, v129, v5                               // 0000000067C4: 0B020B81
	v_mul_f32_e32 v130, v130, v6                               // 0000000067C8: 0B040D82
	v_mul_f32_e32 v131, v131, v7                               // 0000000067CC: 0B060F83
	v_mul_f32_e32 v128, v128, v184                             // 0000000067D0: 0B017180
	v_mul_f32_e32 v129, v129, v185                             // 0000000067D4: 0B037381
	v_mul_f32_e32 v130, v130, v186                             // 0000000067D8: 0B057582
	v_mul_f32_e32 v131, v131, v187                             // 0000000067DC: 0B077783
	s_branch label_1139                                        // 0000000067E0: BF8201C0

00000000000067e4 <label_0F79>:
	v_mul_f32_e64 v4, -v76, s6                                 // 0000000067E4: D1050004 20000D4C
	v_mul_f32_e64 v5, -v77, s6                                 // 0000000067EC: D1050005 20000D4D
	v_mul_f32_e64 v6, -v78, s6                                 // 0000000067F4: D1050006 20000D4E
	v_mul_f32_e64 v7, -v79, s6                                 // 0000000067FC: D1050007 20000D4F
	v_exp_f32_e32 v4, v4                                       // 000000006804: 7E084104
	v_exp_f32_e32 v5, v5                                       // 000000006808: 7E0A4105
	v_exp_f32_e32 v6, v6                                       // 00000000680C: 7E0C4106
	v_exp_f32_e32 v7, v7                                       // 000000006810: 7E0E4107
	v_add_f32_e64 v4, v4, 1.0                                  // 000000006814: D1010004 0001E504
	v_add_f32_e64 v5, v5, 1.0                                  // 00000000681C: D1010005 0001E505
	v_add_f32_e64 v6, v6, 1.0                                  // 000000006824: D1010006 0001E506
	v_add_f32_e64 v7, v7, 1.0                                  // 00000000682C: D1010007 0001E507
	v_rcp_f32_e32 v4, v4                                       // 000000006834: 7E084504
	v_rcp_f32_e32 v5, v5                                       // 000000006838: 7E0A4505
	v_rcp_f32_e32 v6, v6                                       // 00000000683C: 7E0C4506
	v_rcp_f32_e32 v7, v7                                       // 000000006840: 7E0E4507
	v_mul_f32_e32 v76, v76, v4                                 // 000000006844: 0A98094C
	v_mul_f32_e32 v77, v77, v5                                 // 000000006848: 0A9A0B4D
	v_mul_f32_e32 v78, v78, v6                                 // 00000000684C: 0A9C0D4E
	v_mul_f32_e32 v79, v79, v7                                 // 000000006850: 0A9E0F4F
	v_mul_f32_e32 v76, v76, v132                               // 000000006854: 0A99094C
	v_mul_f32_e32 v77, v77, v133                               // 000000006858: 0A9B0B4D
	v_mul_f32_e32 v78, v78, v134                               // 00000000685C: 0A9D0D4E
	v_mul_f32_e32 v79, v79, v135                               // 000000006860: 0A9F0F4F
	v_mul_f32_e64 v4, -v80, s6                                 // 000000006864: D1050004 20000D50
	v_mul_f32_e64 v5, -v81, s6                                 // 00000000686C: D1050005 20000D51
	v_mul_f32_e64 v6, -v82, s6                                 // 000000006874: D1050006 20000D52
	v_mul_f32_e64 v7, -v83, s6                                 // 00000000687C: D1050007 20000D53
	v_exp_f32_e32 v4, v4                                       // 000000006884: 7E084104
	v_exp_f32_e32 v5, v5                                       // 000000006888: 7E0A4105
	v_exp_f32_e32 v6, v6                                       // 00000000688C: 7E0C4106
	v_exp_f32_e32 v7, v7                                       // 000000006890: 7E0E4107
	v_add_f32_e64 v4, v4, 1.0                                  // 000000006894: D1010004 0001E504
	v_add_f32_e64 v5, v5, 1.0                                  // 00000000689C: D1010005 0001E505
	v_add_f32_e64 v6, v6, 1.0                                  // 0000000068A4: D1010006 0001E506
	v_add_f32_e64 v7, v7, 1.0                                  // 0000000068AC: D1010007 0001E507
	v_rcp_f32_e32 v4, v4                                       // 0000000068B4: 7E084504
	v_rcp_f32_e32 v5, v5                                       // 0000000068B8: 7E0A4505
	v_rcp_f32_e32 v6, v6                                       // 0000000068BC: 7E0C4506
	v_rcp_f32_e32 v7, v7                                       // 0000000068C0: 7E0E4507
	v_mul_f32_e32 v80, v80, v4                                 // 0000000068C4: 0AA00950
	v_mul_f32_e32 v81, v81, v5                                 // 0000000068C8: 0AA20B51
	v_mul_f32_e32 v82, v82, v6                                 // 0000000068CC: 0AA40D52
	v_mul_f32_e32 v83, v83, v7                                 // 0000000068D0: 0AA60F53
	v_mul_f32_e32 v80, v80, v136                               // 0000000068D4: 0AA11150
	v_mul_f32_e32 v81, v81, v137                               // 0000000068D8: 0AA31351
	v_mul_f32_e32 v82, v82, v138                               // 0000000068DC: 0AA51552
	v_mul_f32_e32 v83, v83, v139                               // 0000000068E0: 0AA71753
	v_mul_f32_e64 v4, -v84, s6                                 // 0000000068E4: D1050004 20000D54
	v_mul_f32_e64 v5, -v85, s6                                 // 0000000068EC: D1050005 20000D55
	v_mul_f32_e64 v6, -v86, s6                                 // 0000000068F4: D1050006 20000D56
	v_mul_f32_e64 v7, -v87, s6                                 // 0000000068FC: D1050007 20000D57
	v_exp_f32_e32 v4, v4                                       // 000000006904: 7E084104
	v_exp_f32_e32 v5, v5                                       // 000000006908: 7E0A4105
	v_exp_f32_e32 v6, v6                                       // 00000000690C: 7E0C4106
	v_exp_f32_e32 v7, v7                                       // 000000006910: 7E0E4107
	v_add_f32_e64 v4, v4, 1.0                                  // 000000006914: D1010004 0001E504
	v_add_f32_e64 v5, v5, 1.0                                  // 00000000691C: D1010005 0001E505
	v_add_f32_e64 v6, v6, 1.0                                  // 000000006924: D1010006 0001E506
	v_add_f32_e64 v7, v7, 1.0                                  // 00000000692C: D1010007 0001E507
	v_rcp_f32_e32 v4, v4                                       // 000000006934: 7E084504
	v_rcp_f32_e32 v5, v5                                       // 000000006938: 7E0A4505
	v_rcp_f32_e32 v6, v6                                       // 00000000693C: 7E0C4506
	v_rcp_f32_e32 v7, v7                                       // 000000006940: 7E0E4507
	v_mul_f32_e32 v84, v84, v4                                 // 000000006944: 0AA80954
	v_mul_f32_e32 v85, v85, v5                                 // 000000006948: 0AAA0B55
	v_mul_f32_e32 v86, v86, v6                                 // 00000000694C: 0AAC0D56
	v_mul_f32_e32 v87, v87, v7                                 // 000000006950: 0AAE0F57
	v_mul_f32_e32 v84, v84, v140                               // 000000006954: 0AA91954
	v_mul_f32_e32 v85, v85, v141                               // 000000006958: 0AAB1B55
	v_mul_f32_e32 v86, v86, v142                               // 00000000695C: 0AAD1D56
	v_mul_f32_e32 v87, v87, v143                               // 000000006960: 0AAF1F57
	v_mul_f32_e64 v4, -v88, s6                                 // 000000006964: D1050004 20000D58
	v_mul_f32_e64 v5, -v89, s6                                 // 00000000696C: D1050005 20000D59
	v_mul_f32_e64 v6, -v90, s6                                 // 000000006974: D1050006 20000D5A
	v_mul_f32_e64 v7, -v91, s6                                 // 00000000697C: D1050007 20000D5B
	v_exp_f32_e32 v4, v4                                       // 000000006984: 7E084104
	v_exp_f32_e32 v5, v5                                       // 000000006988: 7E0A4105
	v_exp_f32_e32 v6, v6                                       // 00000000698C: 7E0C4106
	v_exp_f32_e32 v7, v7                                       // 000000006990: 7E0E4107
	v_add_f32_e64 v4, v4, 1.0                                  // 000000006994: D1010004 0001E504
	v_add_f32_e64 v5, v5, 1.0                                  // 00000000699C: D1010005 0001E505
	v_add_f32_e64 v6, v6, 1.0                                  // 0000000069A4: D1010006 0001E506
	v_add_f32_e64 v7, v7, 1.0                                  // 0000000069AC: D1010007 0001E507
	v_rcp_f32_e32 v4, v4                                       // 0000000069B4: 7E084504
	v_rcp_f32_e32 v5, v5                                       // 0000000069B8: 7E0A4505
	v_rcp_f32_e32 v6, v6                                       // 0000000069BC: 7E0C4506
	v_rcp_f32_e32 v7, v7                                       // 0000000069C0: 7E0E4507
	v_mul_f32_e32 v88, v88, v4                                 // 0000000069C4: 0AB00958
	v_mul_f32_e32 v89, v89, v5                                 // 0000000069C8: 0AB20B59
	v_mul_f32_e32 v90, v90, v6                                 // 0000000069CC: 0AB40D5A
	v_mul_f32_e32 v91, v91, v7                                 // 0000000069D0: 0AB60F5B
	v_mul_f32_e32 v88, v88, v144                               // 0000000069D4: 0AB12158
	v_mul_f32_e32 v89, v89, v145                               // 0000000069D8: 0AB32359
	v_mul_f32_e32 v90, v90, v146                               // 0000000069DC: 0AB5255A
	v_mul_f32_e32 v91, v91, v147                               // 0000000069E0: 0AB7275B
	v_mul_f32_e64 v4, -v92, s6                                 // 0000000069E4: D1050004 20000D5C
	v_mul_f32_e64 v5, -v93, s6                                 // 0000000069EC: D1050005 20000D5D
	v_mul_f32_e64 v6, -v94, s6                                 // 0000000069F4: D1050006 20000D5E
	v_mul_f32_e64 v7, -v95, s6                                 // 0000000069FC: D1050007 20000D5F
	v_exp_f32_e32 v4, v4                                       // 000000006A04: 7E084104
	v_exp_f32_e32 v5, v5                                       // 000000006A08: 7E0A4105
	v_exp_f32_e32 v6, v6                                       // 000000006A0C: 7E0C4106
	v_exp_f32_e32 v7, v7                                       // 000000006A10: 7E0E4107
	v_add_f32_e64 v4, v4, 1.0                                  // 000000006A14: D1010004 0001E504
	v_add_f32_e64 v5, v5, 1.0                                  // 000000006A1C: D1010005 0001E505
	v_add_f32_e64 v6, v6, 1.0                                  // 000000006A24: D1010006 0001E506
	v_add_f32_e64 v7, v7, 1.0                                  // 000000006A2C: D1010007 0001E507
	v_rcp_f32_e32 v4, v4                                       // 000000006A34: 7E084504
	v_rcp_f32_e32 v5, v5                                       // 000000006A38: 7E0A4505
	v_rcp_f32_e32 v6, v6                                       // 000000006A3C: 7E0C4506
	v_rcp_f32_e32 v7, v7                                       // 000000006A40: 7E0E4507
	v_mul_f32_e32 v92, v92, v4                                 // 000000006A44: 0AB8095C
	v_mul_f32_e32 v93, v93, v5                                 // 000000006A48: 0ABA0B5D
	v_mul_f32_e32 v94, v94, v6                                 // 000000006A4C: 0ABC0D5E
	v_mul_f32_e32 v95, v95, v7                                 // 000000006A50: 0ABE0F5F
	v_mul_f32_e32 v92, v92, v148                               // 000000006A54: 0AB9295C
	v_mul_f32_e32 v93, v93, v149                               // 000000006A58: 0ABB2B5D
	v_mul_f32_e32 v94, v94, v150                               // 000000006A5C: 0ABD2D5E
	v_mul_f32_e32 v95, v95, v151                               // 000000006A60: 0ABF2F5F
	v_mul_f32_e64 v4, -v96, s6                                 // 000000006A64: D1050004 20000D60
	v_mul_f32_e64 v5, -v97, s6                                 // 000000006A6C: D1050005 20000D61
	v_mul_f32_e64 v6, -v98, s6                                 // 000000006A74: D1050006 20000D62
	v_mul_f32_e64 v7, -v99, s6                                 // 000000006A7C: D1050007 20000D63
	v_exp_f32_e32 v4, v4                                       // 000000006A84: 7E084104
	v_exp_f32_e32 v5, v5                                       // 000000006A88: 7E0A4105
	v_exp_f32_e32 v6, v6                                       // 000000006A8C: 7E0C4106
	v_exp_f32_e32 v7, v7                                       // 000000006A90: 7E0E4107
	v_add_f32_e64 v4, v4, 1.0                                  // 000000006A94: D1010004 0001E504
	v_add_f32_e64 v5, v5, 1.0                                  // 000000006A9C: D1010005 0001E505
	v_add_f32_e64 v6, v6, 1.0                                  // 000000006AA4: D1010006 0001E506
	v_add_f32_e64 v7, v7, 1.0                                  // 000000006AAC: D1010007 0001E507
	v_rcp_f32_e32 v4, v4                                       // 000000006AB4: 7E084504
	v_rcp_f32_e32 v5, v5                                       // 000000006AB8: 7E0A4505
	v_rcp_f32_e32 v6, v6                                       // 000000006ABC: 7E0C4506
	v_rcp_f32_e32 v7, v7                                       // 000000006AC0: 7E0E4507
	v_mul_f32_e32 v96, v96, v4                                 // 000000006AC4: 0AC00960
	v_mul_f32_e32 v97, v97, v5                                 // 000000006AC8: 0AC20B61
	v_mul_f32_e32 v98, v98, v6                                 // 000000006ACC: 0AC40D62
	v_mul_f32_e32 v99, v99, v7                                 // 000000006AD0: 0AC60F63
	v_mul_f32_e32 v96, v96, v152                               // 000000006AD4: 0AC13160
	v_mul_f32_e32 v97, v97, v153                               // 000000006AD8: 0AC33361
	v_mul_f32_e32 v98, v98, v154                               // 000000006ADC: 0AC53562
	v_mul_f32_e32 v99, v99, v155                               // 000000006AE0: 0AC73763
	v_mul_f32_e64 v4, -v100, s6                                // 000000006AE4: D1050004 20000D64
	v_mul_f32_e64 v5, -v101, s6                                // 000000006AEC: D1050005 20000D65
	v_mul_f32_e64 v6, -v102, s6                                // 000000006AF4: D1050006 20000D66
	v_mul_f32_e64 v7, -v103, s6                                // 000000006AFC: D1050007 20000D67
	v_exp_f32_e32 v4, v4                                       // 000000006B04: 7E084104
	v_exp_f32_e32 v5, v5                                       // 000000006B08: 7E0A4105
	v_exp_f32_e32 v6, v6                                       // 000000006B0C: 7E0C4106
	v_exp_f32_e32 v7, v7                                       // 000000006B10: 7E0E4107
	v_add_f32_e64 v4, v4, 1.0                                  // 000000006B14: D1010004 0001E504
	v_add_f32_e64 v5, v5, 1.0                                  // 000000006B1C: D1010005 0001E505
	v_add_f32_e64 v6, v6, 1.0                                  // 000000006B24: D1010006 0001E506
	v_add_f32_e64 v7, v7, 1.0                                  // 000000006B2C: D1010007 0001E507
	v_rcp_f32_e32 v4, v4                                       // 000000006B34: 7E084504
	v_rcp_f32_e32 v5, v5                                       // 000000006B38: 7E0A4505
	v_rcp_f32_e32 v6, v6                                       // 000000006B3C: 7E0C4506
	v_rcp_f32_e32 v7, v7                                       // 000000006B40: 7E0E4507
	v_mul_f32_e32 v100, v100, v4                               // 000000006B44: 0AC80964
	v_mul_f32_e32 v101, v101, v5                               // 000000006B48: 0ACA0B65
	v_mul_f32_e32 v102, v102, v6                               // 000000006B4C: 0ACC0D66
	v_mul_f32_e32 v103, v103, v7                               // 000000006B50: 0ACE0F67
	v_mul_f32_e32 v100, v100, v156                             // 000000006B54: 0AC93964
	v_mul_f32_e32 v101, v101, v157                             // 000000006B58: 0ACB3B65
	v_mul_f32_e32 v102, v102, v158                             // 000000006B5C: 0ACD3D66
	v_mul_f32_e32 v103, v103, v159                             // 000000006B60: 0ACF3F67
	v_mul_f32_e64 v4, -v104, s6                                // 000000006B64: D1050004 20000D68
	v_mul_f32_e64 v5, -v105, s6                                // 000000006B6C: D1050005 20000D69
	v_mul_f32_e64 v6, -v106, s6                                // 000000006B74: D1050006 20000D6A
	v_mul_f32_e64 v7, -v107, s6                                // 000000006B7C: D1050007 20000D6B
	v_exp_f32_e32 v4, v4                                       // 000000006B84: 7E084104
	v_exp_f32_e32 v5, v5                                       // 000000006B88: 7E0A4105
	v_exp_f32_e32 v6, v6                                       // 000000006B8C: 7E0C4106
	v_exp_f32_e32 v7, v7                                       // 000000006B90: 7E0E4107
	v_add_f32_e64 v4, v4, 1.0                                  // 000000006B94: D1010004 0001E504
	v_add_f32_e64 v5, v5, 1.0                                  // 000000006B9C: D1010005 0001E505
	v_add_f32_e64 v6, v6, 1.0                                  // 000000006BA4: D1010006 0001E506
	v_add_f32_e64 v7, v7, 1.0                                  // 000000006BAC: D1010007 0001E507
	v_rcp_f32_e32 v4, v4                                       // 000000006BB4: 7E084504
	v_rcp_f32_e32 v5, v5                                       // 000000006BB8: 7E0A4505
	v_rcp_f32_e32 v6, v6                                       // 000000006BBC: 7E0C4506
	v_rcp_f32_e32 v7, v7                                       // 000000006BC0: 7E0E4507
	v_mul_f32_e32 v104, v104, v4                               // 000000006BC4: 0AD00968
	v_mul_f32_e32 v105, v105, v5                               // 000000006BC8: 0AD20B69
	v_mul_f32_e32 v106, v106, v6                               // 000000006BCC: 0AD40D6A
	v_mul_f32_e32 v107, v107, v7                               // 000000006BD0: 0AD60F6B
	v_mul_f32_e32 v104, v104, v160                             // 000000006BD4: 0AD14168
	v_mul_f32_e32 v105, v105, v161                             // 000000006BD8: 0AD34369
	v_mul_f32_e32 v106, v106, v162                             // 000000006BDC: 0AD5456A
	v_mul_f32_e32 v107, v107, v163                             // 000000006BE0: 0AD7476B
	v_mul_f32_e64 v4, -v108, s6                                // 000000006BE4: D1050004 20000D6C
	v_mul_f32_e64 v5, -v109, s6                                // 000000006BEC: D1050005 20000D6D
	v_mul_f32_e64 v6, -v110, s6                                // 000000006BF4: D1050006 20000D6E
	v_mul_f32_e64 v7, -v111, s6                                // 000000006BFC: D1050007 20000D6F
	v_exp_f32_e32 v4, v4                                       // 000000006C04: 7E084104
	v_exp_f32_e32 v5, v5                                       // 000000006C08: 7E0A4105
	v_exp_f32_e32 v6, v6                                       // 000000006C0C: 7E0C4106
	v_exp_f32_e32 v7, v7                                       // 000000006C10: 7E0E4107
	v_add_f32_e64 v4, v4, 1.0                                  // 000000006C14: D1010004 0001E504
	v_add_f32_e64 v5, v5, 1.0                                  // 000000006C1C: D1010005 0001E505
	v_add_f32_e64 v6, v6, 1.0                                  // 000000006C24: D1010006 0001E506
	v_add_f32_e64 v7, v7, 1.0                                  // 000000006C2C: D1010007 0001E507
	v_rcp_f32_e32 v4, v4                                       // 000000006C34: 7E084504
	v_rcp_f32_e32 v5, v5                                       // 000000006C38: 7E0A4505
	v_rcp_f32_e32 v6, v6                                       // 000000006C3C: 7E0C4506
	v_rcp_f32_e32 v7, v7                                       // 000000006C40: 7E0E4507
	v_mul_f32_e32 v108, v108, v4                               // 000000006C44: 0AD8096C
	v_mul_f32_e32 v109, v109, v5                               // 000000006C48: 0ADA0B6D
	v_mul_f32_e32 v110, v110, v6                               // 000000006C4C: 0ADC0D6E
	v_mul_f32_e32 v111, v111, v7                               // 000000006C50: 0ADE0F6F
	v_mul_f32_e32 v108, v108, v164                             // 000000006C54: 0AD9496C
	v_mul_f32_e32 v109, v109, v165                             // 000000006C58: 0ADB4B6D
	v_mul_f32_e32 v110, v110, v166                             // 000000006C5C: 0ADD4D6E
	v_mul_f32_e32 v111, v111, v167                             // 000000006C60: 0ADF4F6F
	v_mul_f32_e64 v4, -v112, s6                                // 000000006C64: D1050004 20000D70
	v_mul_f32_e64 v5, -v113, s6                                // 000000006C6C: D1050005 20000D71
	v_mul_f32_e64 v6, -v114, s6                                // 000000006C74: D1050006 20000D72
	v_mul_f32_e64 v7, -v115, s6                                // 000000006C7C: D1050007 20000D73
	v_exp_f32_e32 v4, v4                                       // 000000006C84: 7E084104
	v_exp_f32_e32 v5, v5                                       // 000000006C88: 7E0A4105
	v_exp_f32_e32 v6, v6                                       // 000000006C8C: 7E0C4106
	v_exp_f32_e32 v7, v7                                       // 000000006C90: 7E0E4107
	v_add_f32_e64 v4, v4, 1.0                                  // 000000006C94: D1010004 0001E504
	v_add_f32_e64 v5, v5, 1.0                                  // 000000006C9C: D1010005 0001E505
	v_add_f32_e64 v6, v6, 1.0                                  // 000000006CA4: D1010006 0001E506
	v_add_f32_e64 v7, v7, 1.0                                  // 000000006CAC: D1010007 0001E507
	v_rcp_f32_e32 v4, v4                                       // 000000006CB4: 7E084504
	v_rcp_f32_e32 v5, v5                                       // 000000006CB8: 7E0A4505
	v_rcp_f32_e32 v6, v6                                       // 000000006CBC: 7E0C4506
	v_rcp_f32_e32 v7, v7                                       // 000000006CC0: 7E0E4507
	v_mul_f32_e32 v112, v112, v4                               // 000000006CC4: 0AE00970
	v_mul_f32_e32 v113, v113, v5                               // 000000006CC8: 0AE20B71
	v_mul_f32_e32 v114, v114, v6                               // 000000006CCC: 0AE40D72
	v_mul_f32_e32 v115, v115, v7                               // 000000006CD0: 0AE60F73
	v_mul_f32_e32 v112, v112, v168                             // 000000006CD4: 0AE15170
	v_mul_f32_e32 v113, v113, v169                             // 000000006CD8: 0AE35371
	v_mul_f32_e32 v114, v114, v170                             // 000000006CDC: 0AE55572
	v_mul_f32_e32 v115, v115, v171                             // 000000006CE0: 0AE75773
	v_mul_f32_e64 v4, -v116, s6                                // 000000006CE4: D1050004 20000D74
	v_mul_f32_e64 v5, -v117, s6                                // 000000006CEC: D1050005 20000D75
	v_mul_f32_e64 v6, -v118, s6                                // 000000006CF4: D1050006 20000D76
	v_mul_f32_e64 v7, -v119, s6                                // 000000006CFC: D1050007 20000D77
	v_exp_f32_e32 v4, v4                                       // 000000006D04: 7E084104
	v_exp_f32_e32 v5, v5                                       // 000000006D08: 7E0A4105
	v_exp_f32_e32 v6, v6                                       // 000000006D0C: 7E0C4106
	v_exp_f32_e32 v7, v7                                       // 000000006D10: 7E0E4107
	v_add_f32_e64 v4, v4, 1.0                                  // 000000006D14: D1010004 0001E504
	v_add_f32_e64 v5, v5, 1.0                                  // 000000006D1C: D1010005 0001E505
	v_add_f32_e64 v6, v6, 1.0                                  // 000000006D24: D1010006 0001E506
	v_add_f32_e64 v7, v7, 1.0                                  // 000000006D2C: D1010007 0001E507
	v_rcp_f32_e32 v4, v4                                       // 000000006D34: 7E084504
	v_rcp_f32_e32 v5, v5                                       // 000000006D38: 7E0A4505
	v_rcp_f32_e32 v6, v6                                       // 000000006D3C: 7E0C4506
	v_rcp_f32_e32 v7, v7                                       // 000000006D40: 7E0E4507
	v_mul_f32_e32 v116, v116, v4                               // 000000006D44: 0AE80974
	v_mul_f32_e32 v117, v117, v5                               // 000000006D48: 0AEA0B75
	v_mul_f32_e32 v118, v118, v6                               // 000000006D4C: 0AEC0D76
	v_mul_f32_e32 v119, v119, v7                               // 000000006D50: 0AEE0F77
	v_mul_f32_e32 v116, v116, v172                             // 000000006D54: 0AE95974
	v_mul_f32_e32 v117, v117, v173                             // 000000006D58: 0AEB5B75
	v_mul_f32_e32 v118, v118, v174                             // 000000006D5C: 0AED5D76
	v_mul_f32_e32 v119, v119, v175                             // 000000006D60: 0AEF5F77
	v_mul_f32_e64 v4, -v120, s6                                // 000000006D64: D1050004 20000D78
	v_mul_f32_e64 v5, -v121, s6                                // 000000006D6C: D1050005 20000D79
	v_mul_f32_e64 v6, -v122, s6                                // 000000006D74: D1050006 20000D7A
	v_mul_f32_e64 v7, -v123, s6                                // 000000006D7C: D1050007 20000D7B
	v_exp_f32_e32 v4, v4                                       // 000000006D84: 7E084104
	v_exp_f32_e32 v5, v5                                       // 000000006D88: 7E0A4105
	v_exp_f32_e32 v6, v6                                       // 000000006D8C: 7E0C4106
	v_exp_f32_e32 v7, v7                                       // 000000006D90: 7E0E4107
	v_add_f32_e64 v4, v4, 1.0                                  // 000000006D94: D1010004 0001E504
	v_add_f32_e64 v5, v5, 1.0                                  // 000000006D9C: D1010005 0001E505
	v_add_f32_e64 v6, v6, 1.0                                  // 000000006DA4: D1010006 0001E506
	v_add_f32_e64 v7, v7, 1.0                                  // 000000006DAC: D1010007 0001E507
	v_rcp_f32_e32 v4, v4                                       // 000000006DB4: 7E084504
	v_rcp_f32_e32 v5, v5                                       // 000000006DB8: 7E0A4505
	v_rcp_f32_e32 v6, v6                                       // 000000006DBC: 7E0C4506
	v_rcp_f32_e32 v7, v7                                       // 000000006DC0: 7E0E4507
	v_mul_f32_e32 v120, v120, v4                               // 000000006DC4: 0AF00978
	v_mul_f32_e32 v121, v121, v5                               // 000000006DC8: 0AF20B79
	v_mul_f32_e32 v122, v122, v6                               // 000000006DCC: 0AF40D7A
	v_mul_f32_e32 v123, v123, v7                               // 000000006DD0: 0AF60F7B
	v_mul_f32_e32 v120, v120, v176                             // 000000006DD4: 0AF16178
	v_mul_f32_e32 v121, v121, v177                             // 000000006DD8: 0AF36379
	v_mul_f32_e32 v122, v122, v178                             // 000000006DDC: 0AF5657A
	v_mul_f32_e32 v123, v123, v179                             // 000000006DE0: 0AF7677B
	v_mul_f32_e64 v4, -v124, s6                                // 000000006DE4: D1050004 20000D7C
	v_mul_f32_e64 v5, -v125, s6                                // 000000006DEC: D1050005 20000D7D
	v_mul_f32_e64 v6, -v126, s6                                // 000000006DF4: D1050006 20000D7E
	v_mul_f32_e64 v7, -v127, s6                                // 000000006DFC: D1050007 20000D7F
	v_exp_f32_e32 v4, v4                                       // 000000006E04: 7E084104
	v_exp_f32_e32 v5, v5                                       // 000000006E08: 7E0A4105
	v_exp_f32_e32 v6, v6                                       // 000000006E0C: 7E0C4106
	v_exp_f32_e32 v7, v7                                       // 000000006E10: 7E0E4107
	v_add_f32_e64 v4, v4, 1.0                                  // 000000006E14: D1010004 0001E504
	v_add_f32_e64 v5, v5, 1.0                                  // 000000006E1C: D1010005 0001E505
	v_add_f32_e64 v6, v6, 1.0                                  // 000000006E24: D1010006 0001E506
	v_add_f32_e64 v7, v7, 1.0                                  // 000000006E2C: D1010007 0001E507
	v_rcp_f32_e32 v4, v4                                       // 000000006E34: 7E084504
	v_rcp_f32_e32 v5, v5                                       // 000000006E38: 7E0A4505
	v_rcp_f32_e32 v6, v6                                       // 000000006E3C: 7E0C4506
	v_rcp_f32_e32 v7, v7                                       // 000000006E40: 7E0E4507
	v_mul_f32_e32 v124, v124, v4                               // 000000006E44: 0AF8097C
	v_mul_f32_e32 v125, v125, v5                               // 000000006E48: 0AFA0B7D
	v_mul_f32_e32 v126, v126, v6                               // 000000006E4C: 0AFC0D7E
	v_mul_f32_e32 v127, v127, v7                               // 000000006E50: 0AFE0F7F
	v_mul_f32_e32 v124, v124, v180                             // 000000006E54: 0AF9697C
	v_mul_f32_e32 v125, v125, v181                             // 000000006E58: 0AFB6B7D
	v_mul_f32_e32 v126, v126, v182                             // 000000006E5C: 0AFD6D7E
	v_mul_f32_e32 v127, v127, v183                             // 000000006E60: 0AFF6F7F
	v_mul_f32_e64 v4, -v128, s6                                // 000000006E64: D1050004 20000D80
	v_mul_f32_e64 v5, -v129, s6                                // 000000006E6C: D1050005 20000D81
	v_mul_f32_e64 v6, -v130, s6                                // 000000006E74: D1050006 20000D82
	v_mul_f32_e64 v7, -v131, s6                                // 000000006E7C: D1050007 20000D83
	v_exp_f32_e32 v4, v4                                       // 000000006E84: 7E084104
	v_exp_f32_e32 v5, v5                                       // 000000006E88: 7E0A4105
	v_exp_f32_e32 v6, v6                                       // 000000006E8C: 7E0C4106
	v_exp_f32_e32 v7, v7                                       // 000000006E90: 7E0E4107
	v_add_f32_e64 v4, v4, 1.0                                  // 000000006E94: D1010004 0001E504
	v_add_f32_e64 v5, v5, 1.0                                  // 000000006E9C: D1010005 0001E505
	v_add_f32_e64 v6, v6, 1.0                                  // 000000006EA4: D1010006 0001E506
	v_add_f32_e64 v7, v7, 1.0                                  // 000000006EAC: D1010007 0001E507
	v_rcp_f32_e32 v4, v4                                       // 000000006EB4: 7E084504
	v_rcp_f32_e32 v5, v5                                       // 000000006EB8: 7E0A4505
	v_rcp_f32_e32 v6, v6                                       // 000000006EBC: 7E0C4506
	v_rcp_f32_e32 v7, v7                                       // 000000006EC0: 7E0E4507
	v_mul_f32_e32 v128, v128, v4                               // 000000006EC4: 0B000980
	v_mul_f32_e32 v129, v129, v5                               // 000000006EC8: 0B020B81
	v_mul_f32_e32 v130, v130, v6                               // 000000006ECC: 0B040D82
	v_mul_f32_e32 v131, v131, v7                               // 000000006ED0: 0B060F83
	v_mul_f32_e32 v128, v128, v184                             // 000000006ED4: 0B017180
	v_mul_f32_e32 v129, v129, v185                             // 000000006ED8: 0B037381
	v_mul_f32_e32 v130, v130, v186                             // 000000006EDC: 0B057582
	v_mul_f32_e32 v131, v131, v187                             // 000000006EE0: 0B077783

0000000000006ee4 <label_1139>:
	v_cmp_u_f32_e64 s[46:47], v76, v76                         // 000000006EE4: D048002E 0002994C
	v_add3_u32 v16, v76, v19, 1                                // 000000006EEC: D1FF0010 0206274C
	v_cndmask_b32_e64 v4, v16, v18, s[46:47]                   // 000000006EF4: D1000004 00BA2510
	v_cmp_u_f32_e64 s[46:47], v77, v77                         // 000000006EFC: D048002E 00029B4D
	v_add3_u32 v16, v77, v19, 1                                // 000000006F04: D1FF0010 0206274D
	v_cndmask_b32_e64 v5, v16, v18, s[46:47]                   // 000000006F0C: D1000005 00BA2510
	v_perm_b32 v76, v5, v4, s52                                // 000000006F14: D1ED004C 00D20905
	v_cmp_u_f32_e64 s[46:47], v78, v78                         // 000000006F1C: D048002E 00029D4E
	v_add3_u32 v16, v78, v19, 1                                // 000000006F24: D1FF0010 0206274E
	v_cndmask_b32_e64 v4, v16, v18, s[46:47]                   // 000000006F2C: D1000004 00BA2510
	v_cmp_u_f32_e64 s[46:47], v79, v79                         // 000000006F34: D048002E 00029F4F
	v_add3_u32 v16, v79, v19, 1                                // 000000006F3C: D1FF0010 0206274F
	v_cndmask_b32_e64 v5, v16, v18, s[46:47]                   // 000000006F44: D1000005 00BA2510
	v_perm_b32 v77, v5, v4, s52                                // 000000006F4C: D1ED004D 00D20905
	v_cmp_u_f32_e64 s[46:47], v80, v80                         // 000000006F54: D048002E 0002A150
	v_add3_u32 v16, v80, v19, 1                                // 000000006F5C: D1FF0010 02062750
	v_cndmask_b32_e64 v4, v16, v18, s[46:47]                   // 000000006F64: D1000004 00BA2510
	v_cmp_u_f32_e64 s[46:47], v81, v81                         // 000000006F6C: D048002E 0002A351
	v_add3_u32 v16, v81, v19, 1                                // 000000006F74: D1FF0010 02062751
	v_cndmask_b32_e64 v5, v16, v18, s[46:47]                   // 000000006F7C: D1000005 00BA2510
	v_perm_b32 v78, v5, v4, s52                                // 000000006F84: D1ED004E 00D20905
	v_cmp_u_f32_e64 s[46:47], v82, v82                         // 000000006F8C: D048002E 0002A552
	v_add3_u32 v16, v82, v19, 1                                // 000000006F94: D1FF0010 02062752
	v_cndmask_b32_e64 v4, v16, v18, s[46:47]                   // 000000006F9C: D1000004 00BA2510
	v_cmp_u_f32_e64 s[46:47], v83, v83                         // 000000006FA4: D048002E 0002A753
	v_add3_u32 v16, v83, v19, 1                                // 000000006FAC: D1FF0010 02062753
	v_cndmask_b32_e64 v5, v16, v18, s[46:47]                   // 000000006FB4: D1000005 00BA2510
	v_perm_b32 v79, v5, v4, s52                                // 000000006FBC: D1ED004F 00D20905
	v_cmp_u_f32_e64 s[46:47], v84, v84                         // 000000006FC4: D048002E 0002A954
	v_add3_u32 v16, v84, v19, 1                                // 000000006FCC: D1FF0010 02062754
	v_cndmask_b32_e64 v4, v16, v18, s[46:47]                   // 000000006FD4: D1000004 00BA2510
	v_cmp_u_f32_e64 s[46:47], v85, v85                         // 000000006FDC: D048002E 0002AB55
	v_add3_u32 v16, v85, v19, 1                                // 000000006FE4: D1FF0010 02062755
	v_cndmask_b32_e64 v5, v16, v18, s[46:47]                   // 000000006FEC: D1000005 00BA2510
	v_perm_b32 v80, v5, v4, s52                                // 000000006FF4: D1ED0050 00D20905
	v_cmp_u_f32_e64 s[46:47], v86, v86                         // 000000006FFC: D048002E 0002AD56
	v_add3_u32 v16, v86, v19, 1                                // 000000007004: D1FF0010 02062756
	v_cndmask_b32_e64 v4, v16, v18, s[46:47]                   // 00000000700C: D1000004 00BA2510
	v_cmp_u_f32_e64 s[46:47], v87, v87                         // 000000007014: D048002E 0002AF57
	v_add3_u32 v16, v87, v19, 1                                // 00000000701C: D1FF0010 02062757
	v_cndmask_b32_e64 v5, v16, v18, s[46:47]                   // 000000007024: D1000005 00BA2510
	v_perm_b32 v81, v5, v4, s52                                // 00000000702C: D1ED0051 00D20905
	v_cmp_u_f32_e64 s[46:47], v88, v88                         // 000000007034: D048002E 0002B158
	v_add3_u32 v16, v88, v19, 1                                // 00000000703C: D1FF0010 02062758
	v_cndmask_b32_e64 v4, v16, v18, s[46:47]                   // 000000007044: D1000004 00BA2510
	v_cmp_u_f32_e64 s[46:47], v89, v89                         // 00000000704C: D048002E 0002B359
	v_add3_u32 v16, v89, v19, 1                                // 000000007054: D1FF0010 02062759
	v_cndmask_b32_e64 v5, v16, v18, s[46:47]                   // 00000000705C: D1000005 00BA2510
	v_perm_b32 v82, v5, v4, s52                                // 000000007064: D1ED0052 00D20905
	v_cmp_u_f32_e64 s[46:47], v90, v90                         // 00000000706C: D048002E 0002B55A
	v_add3_u32 v16, v90, v19, 1                                // 000000007074: D1FF0010 0206275A
	v_cndmask_b32_e64 v4, v16, v18, s[46:47]                   // 00000000707C: D1000004 00BA2510
	v_cmp_u_f32_e64 s[46:47], v91, v91                         // 000000007084: D048002E 0002B75B
	v_add3_u32 v16, v91, v19, 1                                // 00000000708C: D1FF0010 0206275B
	v_cndmask_b32_e64 v5, v16, v18, s[46:47]                   // 000000007094: D1000005 00BA2510
	v_perm_b32 v83, v5, v4, s52                                // 00000000709C: D1ED0053 00D20905
	v_cmp_u_f32_e64 s[46:47], v92, v92                         // 0000000070A4: D048002E 0002B95C
	v_add3_u32 v16, v92, v19, 1                                // 0000000070AC: D1FF0010 0206275C
	v_cndmask_b32_e64 v4, v16, v18, s[46:47]                   // 0000000070B4: D1000004 00BA2510
	v_cmp_u_f32_e64 s[46:47], v93, v93                         // 0000000070BC: D048002E 0002BB5D
	v_add3_u32 v16, v93, v19, 1                                // 0000000070C4: D1FF0010 0206275D
	v_cndmask_b32_e64 v5, v16, v18, s[46:47]                   // 0000000070CC: D1000005 00BA2510
	v_perm_b32 v84, v5, v4, s52                                // 0000000070D4: D1ED0054 00D20905
	v_cmp_u_f32_e64 s[46:47], v94, v94                         // 0000000070DC: D048002E 0002BD5E
	v_add3_u32 v16, v94, v19, 1                                // 0000000070E4: D1FF0010 0206275E
	v_cndmask_b32_e64 v4, v16, v18, s[46:47]                   // 0000000070EC: D1000004 00BA2510
	v_cmp_u_f32_e64 s[46:47], v95, v95                         // 0000000070F4: D048002E 0002BF5F
	v_add3_u32 v16, v95, v19, 1                                // 0000000070FC: D1FF0010 0206275F
	v_cndmask_b32_e64 v5, v16, v18, s[46:47]                   // 000000007104: D1000005 00BA2510
	v_perm_b32 v85, v5, v4, s52                                // 00000000710C: D1ED0055 00D20905
	v_cmp_u_f32_e64 s[46:47], v96, v96                         // 000000007114: D048002E 0002C160
	v_add3_u32 v16, v96, v19, 1                                // 00000000711C: D1FF0010 02062760
	v_cndmask_b32_e64 v4, v16, v18, s[46:47]                   // 000000007124: D1000004 00BA2510
	v_cmp_u_f32_e64 s[46:47], v97, v97                         // 00000000712C: D048002E 0002C361
	v_add3_u32 v16, v97, v19, 1                                // 000000007134: D1FF0010 02062761
	v_cndmask_b32_e64 v5, v16, v18, s[46:47]                   // 00000000713C: D1000005 00BA2510
	v_perm_b32 v86, v5, v4, s52                                // 000000007144: D1ED0056 00D20905
	v_cmp_u_f32_e64 s[46:47], v98, v98                         // 00000000714C: D048002E 0002C562
	v_add3_u32 v16, v98, v19, 1                                // 000000007154: D1FF0010 02062762
	v_cndmask_b32_e64 v4, v16, v18, s[46:47]                   // 00000000715C: D1000004 00BA2510
	v_cmp_u_f32_e64 s[46:47], v99, v99                         // 000000007164: D048002E 0002C763
	v_add3_u32 v16, v99, v19, 1                                // 00000000716C: D1FF0010 02062763
	v_cndmask_b32_e64 v5, v16, v18, s[46:47]                   // 000000007174: D1000005 00BA2510
	v_perm_b32 v87, v5, v4, s52                                // 00000000717C: D1ED0057 00D20905
	v_cmp_u_f32_e64 s[46:47], v100, v100                       // 000000007184: D048002E 0002C964
	v_add3_u32 v16, v100, v19, 1                               // 00000000718C: D1FF0010 02062764
	v_cndmask_b32_e64 v4, v16, v18, s[46:47]                   // 000000007194: D1000004 00BA2510
	v_cmp_u_f32_e64 s[46:47], v101, v101                       // 00000000719C: D048002E 0002CB65
	v_add3_u32 v16, v101, v19, 1                               // 0000000071A4: D1FF0010 02062765
	v_cndmask_b32_e64 v5, v16, v18, s[46:47]                   // 0000000071AC: D1000005 00BA2510
	v_perm_b32 v88, v5, v4, s52                                // 0000000071B4: D1ED0058 00D20905
	v_cmp_u_f32_e64 s[46:47], v102, v102                       // 0000000071BC: D048002E 0002CD66
	v_add3_u32 v16, v102, v19, 1                               // 0000000071C4: D1FF0010 02062766
	v_cndmask_b32_e64 v4, v16, v18, s[46:47]                   // 0000000071CC: D1000004 00BA2510
	v_cmp_u_f32_e64 s[46:47], v103, v103                       // 0000000071D4: D048002E 0002CF67
	v_add3_u32 v16, v103, v19, 1                               // 0000000071DC: D1FF0010 02062767
	v_cndmask_b32_e64 v5, v16, v18, s[46:47]                   // 0000000071E4: D1000005 00BA2510
	v_perm_b32 v89, v5, v4, s52                                // 0000000071EC: D1ED0059 00D20905
	v_cmp_u_f32_e64 s[46:47], v104, v104                       // 0000000071F4: D048002E 0002D168
	v_add3_u32 v16, v104, v19, 1                               // 0000000071FC: D1FF0010 02062768
	v_cndmask_b32_e64 v4, v16, v18, s[46:47]                   // 000000007204: D1000004 00BA2510
	v_cmp_u_f32_e64 s[46:47], v105, v105                       // 00000000720C: D048002E 0002D369
	v_add3_u32 v16, v105, v19, 1                               // 000000007214: D1FF0010 02062769
	v_cndmask_b32_e64 v5, v16, v18, s[46:47]                   // 00000000721C: D1000005 00BA2510
	v_perm_b32 v90, v5, v4, s52                                // 000000007224: D1ED005A 00D20905
	v_cmp_u_f32_e64 s[46:47], v106, v106                       // 00000000722C: D048002E 0002D56A
	v_add3_u32 v16, v106, v19, 1                               // 000000007234: D1FF0010 0206276A
	v_cndmask_b32_e64 v4, v16, v18, s[46:47]                   // 00000000723C: D1000004 00BA2510
	v_cmp_u_f32_e64 s[46:47], v107, v107                       // 000000007244: D048002E 0002D76B
	v_add3_u32 v16, v107, v19, 1                               // 00000000724C: D1FF0010 0206276B
	v_cndmask_b32_e64 v5, v16, v18, s[46:47]                   // 000000007254: D1000005 00BA2510
	v_perm_b32 v91, v5, v4, s52                                // 00000000725C: D1ED005B 00D20905
	v_cmp_u_f32_e64 s[46:47], v108, v108                       // 000000007264: D048002E 0002D96C
	v_add3_u32 v16, v108, v19, 1                               // 00000000726C: D1FF0010 0206276C
	v_cndmask_b32_e64 v4, v16, v18, s[46:47]                   // 000000007274: D1000004 00BA2510
	v_cmp_u_f32_e64 s[46:47], v109, v109                       // 00000000727C: D048002E 0002DB6D
	v_add3_u32 v16, v109, v19, 1                               // 000000007284: D1FF0010 0206276D
	v_cndmask_b32_e64 v5, v16, v18, s[46:47]                   // 00000000728C: D1000005 00BA2510
	v_perm_b32 v92, v5, v4, s52                                // 000000007294: D1ED005C 00D20905
	v_cmp_u_f32_e64 s[46:47], v110, v110                       // 00000000729C: D048002E 0002DD6E
	v_add3_u32 v16, v110, v19, 1                               // 0000000072A4: D1FF0010 0206276E
	v_cndmask_b32_e64 v4, v16, v18, s[46:47]                   // 0000000072AC: D1000004 00BA2510
	v_cmp_u_f32_e64 s[46:47], v111, v111                       // 0000000072B4: D048002E 0002DF6F
	v_add3_u32 v16, v111, v19, 1                               // 0000000072BC: D1FF0010 0206276F
	v_cndmask_b32_e64 v5, v16, v18, s[46:47]                   // 0000000072C4: D1000005 00BA2510
	v_perm_b32 v93, v5, v4, s52                                // 0000000072CC: D1ED005D 00D20905
	v_cmp_u_f32_e64 s[46:47], v112, v112                       // 0000000072D4: D048002E 0002E170
	v_add3_u32 v16, v112, v19, 1                               // 0000000072DC: D1FF0010 02062770
	v_cndmask_b32_e64 v4, v16, v18, s[46:47]                   // 0000000072E4: D1000004 00BA2510
	v_cmp_u_f32_e64 s[46:47], v113, v113                       // 0000000072EC: D048002E 0002E371
	v_add3_u32 v16, v113, v19, 1                               // 0000000072F4: D1FF0010 02062771
	v_cndmask_b32_e64 v5, v16, v18, s[46:47]                   // 0000000072FC: D1000005 00BA2510
	v_perm_b32 v94, v5, v4, s52                                // 000000007304: D1ED005E 00D20905
	v_cmp_u_f32_e64 s[46:47], v114, v114                       // 00000000730C: D048002E 0002E572
	v_add3_u32 v16, v114, v19, 1                               // 000000007314: D1FF0010 02062772
	v_cndmask_b32_e64 v4, v16, v18, s[46:47]                   // 00000000731C: D1000004 00BA2510
	v_cmp_u_f32_e64 s[46:47], v115, v115                       // 000000007324: D048002E 0002E773
	v_add3_u32 v16, v115, v19, 1                               // 00000000732C: D1FF0010 02062773
	v_cndmask_b32_e64 v5, v16, v18, s[46:47]                   // 000000007334: D1000005 00BA2510
	v_perm_b32 v95, v5, v4, s52                                // 00000000733C: D1ED005F 00D20905
	v_cmp_u_f32_e64 s[46:47], v116, v116                       // 000000007344: D048002E 0002E974
	v_add3_u32 v16, v116, v19, 1                               // 00000000734C: D1FF0010 02062774
	v_cndmask_b32_e64 v4, v16, v18, s[46:47]                   // 000000007354: D1000004 00BA2510
	v_cmp_u_f32_e64 s[46:47], v117, v117                       // 00000000735C: D048002E 0002EB75
	v_add3_u32 v16, v117, v19, 1                               // 000000007364: D1FF0010 02062775
	v_cndmask_b32_e64 v5, v16, v18, s[46:47]                   // 00000000736C: D1000005 00BA2510
	v_perm_b32 v96, v5, v4, s52                                // 000000007374: D1ED0060 00D20905
	v_cmp_u_f32_e64 s[46:47], v118, v118                       // 00000000737C: D048002E 0002ED76
	v_add3_u32 v16, v118, v19, 1                               // 000000007384: D1FF0010 02062776
	v_cndmask_b32_e64 v4, v16, v18, s[46:47]                   // 00000000738C: D1000004 00BA2510
	v_cmp_u_f32_e64 s[46:47], v119, v119                       // 000000007394: D048002E 0002EF77
	v_add3_u32 v16, v119, v19, 1                               // 00000000739C: D1FF0010 02062777
	v_cndmask_b32_e64 v5, v16, v18, s[46:47]                   // 0000000073A4: D1000005 00BA2510
	v_perm_b32 v97, v5, v4, s52                                // 0000000073AC: D1ED0061 00D20905
	v_cmp_u_f32_e64 s[46:47], v120, v120                       // 0000000073B4: D048002E 0002F178
	v_add3_u32 v16, v120, v19, 1                               // 0000000073BC: D1FF0010 02062778
	v_cndmask_b32_e64 v4, v16, v18, s[46:47]                   // 0000000073C4: D1000004 00BA2510
	v_cmp_u_f32_e64 s[46:47], v121, v121                       // 0000000073CC: D048002E 0002F379
	v_add3_u32 v16, v121, v19, 1                               // 0000000073D4: D1FF0010 02062779
	v_cndmask_b32_e64 v5, v16, v18, s[46:47]                   // 0000000073DC: D1000005 00BA2510
	v_perm_b32 v98, v5, v4, s52                                // 0000000073E4: D1ED0062 00D20905
	v_cmp_u_f32_e64 s[46:47], v122, v122                       // 0000000073EC: D048002E 0002F57A
	v_add3_u32 v16, v122, v19, 1                               // 0000000073F4: D1FF0010 0206277A
	v_cndmask_b32_e64 v4, v16, v18, s[46:47]                   // 0000000073FC: D1000004 00BA2510
	v_cmp_u_f32_e64 s[46:47], v123, v123                       // 000000007404: D048002E 0002F77B
	v_add3_u32 v16, v123, v19, 1                               // 00000000740C: D1FF0010 0206277B
	v_cndmask_b32_e64 v5, v16, v18, s[46:47]                   // 000000007414: D1000005 00BA2510
	v_perm_b32 v99, v5, v4, s52                                // 00000000741C: D1ED0063 00D20905
	v_cmp_u_f32_e64 s[46:47], v124, v124                       // 000000007424: D048002E 0002F97C
	v_add3_u32 v16, v124, v19, 1                               // 00000000742C: D1FF0010 0206277C
	v_cndmask_b32_e64 v4, v16, v18, s[46:47]                   // 000000007434: D1000004 00BA2510
	v_cmp_u_f32_e64 s[46:47], v125, v125                       // 00000000743C: D048002E 0002FB7D
	v_add3_u32 v16, v125, v19, 1                               // 000000007444: D1FF0010 0206277D
	v_cndmask_b32_e64 v5, v16, v18, s[46:47]                   // 00000000744C: D1000005 00BA2510
	v_perm_b32 v100, v5, v4, s52                               // 000000007454: D1ED0064 00D20905
	v_cmp_u_f32_e64 s[46:47], v126, v126                       // 00000000745C: D048002E 0002FD7E
	v_add3_u32 v16, v126, v19, 1                               // 000000007464: D1FF0010 0206277E
	v_cndmask_b32_e64 v4, v16, v18, s[46:47]                   // 00000000746C: D1000004 00BA2510
	v_cmp_u_f32_e64 s[46:47], v127, v127                       // 000000007474: D048002E 0002FF7F
	v_add3_u32 v16, v127, v19, 1                               // 00000000747C: D1FF0010 0206277F
	v_cndmask_b32_e64 v5, v16, v18, s[46:47]                   // 000000007484: D1000005 00BA2510
	v_perm_b32 v101, v5, v4, s52                               // 00000000748C: D1ED0065 00D20905
	v_cmp_u_f32_e64 s[46:47], v128, v128                       // 000000007494: D048002E 00030180
	v_add3_u32 v16, v128, v19, 1                               // 00000000749C: D1FF0010 02062780
	v_cndmask_b32_e64 v4, v16, v18, s[46:47]                   // 0000000074A4: D1000004 00BA2510
	v_cmp_u_f32_e64 s[46:47], v129, v129                       // 0000000074AC: D048002E 00030381
	v_add3_u32 v16, v129, v19, 1                               // 0000000074B4: D1FF0010 02062781
	v_cndmask_b32_e64 v5, v16, v18, s[46:47]                   // 0000000074BC: D1000005 00BA2510
	v_perm_b32 v102, v5, v4, s52                               // 0000000074C4: D1ED0066 00D20905
	v_cmp_u_f32_e64 s[46:47], v130, v130                       // 0000000074CC: D048002E 00030582
	v_add3_u32 v16, v130, v19, 1                               // 0000000074D4: D1FF0010 02062782
	v_cndmask_b32_e64 v4, v16, v18, s[46:47]                   // 0000000074DC: D1000004 00BA2510
	v_cmp_u_f32_e64 s[46:47], v131, v131                       // 0000000074E4: D048002E 00030783
	v_add3_u32 v16, v131, v19, 1                               // 0000000074EC: D1FF0010 02062783
	v_cndmask_b32_e64 v5, v16, v18, s[46:47]                   // 0000000074F4: D1000005 00BA2510
	v_perm_b32 v103, v5, v4, s52                               // 0000000074FC: D1ED0067 00D20905
	ds_write_b64 v20, v[76:77]                                 // 000000007504: D89A0000 00004C14
	ds_write_b64 v20, v[78:79] offset:4352                     // 00000000750C: D89A1100 00004E14
	ds_write_b64 v20, v[80:81] offset:8704                     // 000000007514: D89A2200 00005014
	ds_write_b64 v20, v[82:83] offset:13056                    // 00000000751C: D89A3300 00005214
	ds_write_b64 v20, v[84:85] offset:17408                    // 000000007524: D89A4400 00005414
	ds_write_b64 v20, v[86:87] offset:21760                    // 00000000752C: D89A5500 00005614
	ds_write_b64 v20, v[88:89] offset:26112                    // 000000007534: D89A6600 00005814
	ds_write_b64 v20, v[90:91] offset:2176                     // 00000000753C: D89A0880 00005A14
	ds_write_b64 v20, v[92:93] offset:6528                     // 000000007544: D89A1980 00005C14
	ds_write_b64 v20, v[94:95] offset:10880                    // 00000000754C: D89A2A80 00005E14
	ds_write_b64 v20, v[96:97] offset:15232                    // 000000007554: D89A3B80 00006014
	ds_write_b64 v20, v[98:99] offset:19584                    // 00000000755C: D89A4C80 00006214
	ds_write_b64 v20, v[100:101] offset:23936                  // 000000007564: D89A5D80 00006414
	ds_write_b64 v20, v[102:103] offset:28288                  // 00000000756C: D89A6E80 00006614
	v_lshrrev_b32_e32 v4, 5, v0                                // 000000007574: 20080085
	v_xor_b32_e32 v5, 1, v4                                    // 000000007578: 2A0A0881
	s_mul_i32 s60, s65, 2                                      // 00000000757C: 923C8241
	s_cmp_eq_u32 s88, 0                                        // 000000007580: BF068058
	s_cselect_b32 s61, 1, 4                                    // 000000007584: 853D8481
	s_mul_i32 s60, s61, s60                                    // 000000007588: 923C3C3D
	v_readlane_b32 s82, v3, 0                                  // 00000000758C: D2890052 00010103
	s_lshr_b32 s61, s82, 24                                    // 000000007594: 8F3D9852
	s_and_b32 s82, s82, 0xffffff                               // 000000007598: 8652FF52 00FFFFFF
	s_mul_i32 s82, s82, s71                                    // 0000000075A0: 92524752
	s_mul_i32 s61, s60, s61                                    // 0000000075A4: 923D3D3C
	s_add_u32 s82, s82, s61                                    // 0000000075A8: 80523D52
	v_mul_lo_u32 v6, v5, s82                                   // 0000000075AC: D2850006 0000A505
	v_readlane_b32 s82, v3, 1                                  // 0000000075B4: D2890052 00010303
	s_lshr_b32 s61, s82, 24                                    // 0000000075BC: 8F3D9852
	s_and_b32 s82, s82, 0xffffff                               // 0000000075C0: 8652FF52 00FFFFFF
	s_mul_i32 s82, s82, s71                                    // 0000000075C8: 92524752
	s_mul_i32 s61, s60, s61                                    // 0000000075CC: 923D3D3C
	s_add_u32 s82, s82, s61                                    // 0000000075D0: 80523D52
	v_mul_lo_u32 v7, v4, s82                                   // 0000000075D4: D2850007 0000A504
	v_add_u32_e32 v58, v6, v7                                  // 0000000075DC: 68740F06
	v_readlane_b32 s82, v3, 2                                  // 0000000075E0: D2890052 00010503
	s_lshr_b32 s61, s82, 24                                    // 0000000075E8: 8F3D9852
	s_and_b32 s82, s82, 0xffffff                               // 0000000075EC: 8652FF52 00FFFFFF
	s_mul_i32 s82, s82, s71                                    // 0000000075F4: 92524752
	s_mul_i32 s61, s60, s61                                    // 0000000075F8: 923D3D3C
	s_add_u32 s82, s82, s61                                    // 0000000075FC: 80523D52
	v_mul_lo_u32 v6, v5, s82                                   // 000000007600: D2850006 0000A505
	v_readlane_b32 s82, v3, 3                                  // 000000007608: D2890052 00010703
	s_lshr_b32 s61, s82, 24                                    // 000000007610: 8F3D9852
	s_and_b32 s82, s82, 0xffffff                               // 000000007614: 8652FF52 00FFFFFF
	s_mul_i32 s82, s82, s71                                    // 00000000761C: 92524752
	s_mul_i32 s61, s60, s61                                    // 000000007620: 923D3D3C
	s_add_u32 s82, s82, s61                                    // 000000007624: 80523D52
	v_mul_lo_u32 v7, v4, s82                                   // 000000007628: D2850007 0000A504
	v_add_u32_e32 v59, v6, v7                                  // 000000007630: 68760F06
	v_readlane_b32 s82, v3, 4                                  // 000000007634: D2890052 00010903
	s_lshr_b32 s61, s82, 24                                    // 00000000763C: 8F3D9852
	s_and_b32 s82, s82, 0xffffff                               // 000000007640: 8652FF52 00FFFFFF
	s_mul_i32 s82, s82, s71                                    // 000000007648: 92524752
	s_mul_i32 s61, s60, s61                                    // 00000000764C: 923D3D3C
	s_add_u32 s82, s82, s61                                    // 000000007650: 80523D52
	v_mul_lo_u32 v6, v5, s82                                   // 000000007654: D2850006 0000A505
	v_readlane_b32 s82, v3, 5                                  // 00000000765C: D2890052 00010B03
	s_lshr_b32 s61, s82, 24                                    // 000000007664: 8F3D9852
	s_and_b32 s82, s82, 0xffffff                               // 000000007668: 8652FF52 00FFFFFF
	s_mul_i32 s82, s82, s71                                    // 000000007670: 92524752
	s_mul_i32 s61, s60, s61                                    // 000000007674: 923D3D3C
	s_add_u32 s82, s82, s61                                    // 000000007678: 80523D52
	v_mul_lo_u32 v7, v4, s82                                   // 00000000767C: D2850007 0000A504
	v_add_u32_e32 v60, v6, v7                                  // 000000007684: 68780F06
	v_readlane_b32 s82, v3, 6                                  // 000000007688: D2890052 00010D03
	s_lshr_b32 s61, s82, 24                                    // 000000007690: 8F3D9852
	s_and_b32 s82, s82, 0xffffff                               // 000000007694: 8652FF52 00FFFFFF
	s_mul_i32 s82, s82, s71                                    // 00000000769C: 92524752
	s_mul_i32 s61, s60, s61                                    // 0000000076A0: 923D3D3C
	s_add_u32 s82, s82, s61                                    // 0000000076A4: 80523D52
	v_mul_lo_u32 v6, v5, s82                                   // 0000000076A8: D2850006 0000A505
	v_readlane_b32 s82, v3, 7                                  // 0000000076B0: D2890052 00010F03
	s_lshr_b32 s61, s82, 24                                    // 0000000076B8: 8F3D9852
	s_and_b32 s82, s82, 0xffffff                               // 0000000076BC: 8652FF52 00FFFFFF
	s_mul_i32 s82, s82, s71                                    // 0000000076C4: 92524752
	s_mul_i32 s61, s60, s61                                    // 0000000076C8: 923D3D3C
	s_add_u32 s82, s82, s61                                    // 0000000076CC: 80523D52
	v_mul_lo_u32 v7, v4, s82                                   // 0000000076D0: D2850007 0000A504
	v_add_u32_e32 v61, v6, v7                                  // 0000000076D8: 687A0F06
	v_readlane_b32 s82, v3, 8                                  // 0000000076DC: D2890052 00011103
	s_lshr_b32 s61, s82, 24                                    // 0000000076E4: 8F3D9852
	s_and_b32 s82, s82, 0xffffff                               // 0000000076E8: 8652FF52 00FFFFFF
	s_mul_i32 s82, s82, s71                                    // 0000000076F0: 92524752
	s_mul_i32 s61, s60, s61                                    // 0000000076F4: 923D3D3C
	s_add_u32 s82, s82, s61                                    // 0000000076F8: 80523D52
	v_mul_lo_u32 v6, v5, s82                                   // 0000000076FC: D2850006 0000A505
	v_readlane_b32 s82, v3, 9                                  // 000000007704: D2890052 00011303
	s_lshr_b32 s61, s82, 24                                    // 00000000770C: 8F3D9852
	s_and_b32 s82, s82, 0xffffff                               // 000000007710: 8652FF52 00FFFFFF
	s_mul_i32 s82, s82, s71                                    // 000000007718: 92524752
	s_mul_i32 s61, s60, s61                                    // 00000000771C: 923D3D3C
	s_add_u32 s82, s82, s61                                    // 000000007720: 80523D52
	v_mul_lo_u32 v7, v4, s82                                   // 000000007724: D2850007 0000A504
	v_add_u32_e32 v62, v6, v7                                  // 00000000772C: 687C0F06
	v_readlane_b32 s82, v3, 10                                 // 000000007730: D2890052 00011503
	s_lshr_b32 s61, s82, 24                                    // 000000007738: 8F3D9852
	s_and_b32 s82, s82, 0xffffff                               // 00000000773C: 8652FF52 00FFFFFF
	s_mul_i32 s82, s82, s71                                    // 000000007744: 92524752
	s_mul_i32 s61, s60, s61                                    // 000000007748: 923D3D3C
	s_add_u32 s82, s82, s61                                    // 00000000774C: 80523D52
	v_mul_lo_u32 v6, v5, s82                                   // 000000007750: D2850006 0000A505
	v_readlane_b32 s82, v3, 11                                 // 000000007758: D2890052 00011703
	s_lshr_b32 s61, s82, 24                                    // 000000007760: 8F3D9852
	s_and_b32 s82, s82, 0xffffff                               // 000000007764: 8652FF52 00FFFFFF
	s_mul_i32 s82, s82, s71                                    // 00000000776C: 92524752
	s_mul_i32 s61, s60, s61                                    // 000000007770: 923D3D3C
	s_add_u32 s82, s82, s61                                    // 000000007774: 80523D52
	v_mul_lo_u32 v7, v4, s82                                   // 000000007778: D2850007 0000A504
	v_add_u32_e32 v63, v6, v7                                  // 000000007780: 687E0F06
	v_readlane_b32 s82, v3, 12                                 // 000000007784: D2890052 00011903
	s_lshr_b32 s61, s82, 24                                    // 00000000778C: 8F3D9852
	s_and_b32 s82, s82, 0xffffff                               // 000000007790: 8652FF52 00FFFFFF
	s_mul_i32 s82, s82, s71                                    // 000000007798: 92524752
	s_mul_i32 s61, s60, s61                                    // 00000000779C: 923D3D3C
	s_add_u32 s82, s82, s61                                    // 0000000077A0: 80523D52
	v_mul_lo_u32 v6, v5, s82                                   // 0000000077A4: D2850006 0000A505
	v_readlane_b32 s82, v3, 13                                 // 0000000077AC: D2890052 00011B03
	s_lshr_b32 s61, s82, 24                                    // 0000000077B4: 8F3D9852
	s_and_b32 s82, s82, 0xffffff                               // 0000000077B8: 8652FF52 00FFFFFF
	s_mul_i32 s82, s82, s71                                    // 0000000077C0: 92524752
	s_mul_i32 s61, s60, s61                                    // 0000000077C4: 923D3D3C
	s_add_u32 s82, s82, s61                                    // 0000000077C8: 80523D52
	v_mul_lo_u32 v7, v4, s82                                   // 0000000077CC: D2850007 0000A504
	v_add_u32_e32 v64, v6, v7                                  // 0000000077D4: 68800F06
	v_readlane_b32 s82, v3, 14                                 // 0000000077D8: D2890052 00011D03
	s_lshr_b32 s61, s82, 24                                    // 0000000077E0: 8F3D9852
	s_and_b32 s82, s82, 0xffffff                               // 0000000077E4: 8652FF52 00FFFFFF
	s_mul_i32 s82, s82, s71                                    // 0000000077EC: 92524752
	s_mul_i32 s61, s60, s61                                    // 0000000077F0: 923D3D3C
	s_add_u32 s82, s82, s61                                    // 0000000077F4: 80523D52
	v_mul_lo_u32 v6, v5, s82                                   // 0000000077F8: D2850006 0000A505
	v_readlane_b32 s82, v3, 15                                 // 000000007800: D2890052 00011F03
	s_lshr_b32 s61, s82, 24                                    // 000000007808: 8F3D9852
	s_and_b32 s82, s82, 0xffffff                               // 00000000780C: 8652FF52 00FFFFFF
	s_mul_i32 s82, s82, s71                                    // 000000007814: 92524752
	s_mul_i32 s61, s60, s61                                    // 000000007818: 923D3D3C
	s_add_u32 s82, s82, s61                                    // 00000000781C: 80523D52
	v_mul_lo_u32 v7, v4, s82                                   // 000000007820: D2850007 0000A504
	v_add_u32_e32 v65, v6, v7                                  // 000000007828: 68820F06
	v_readlane_b32 s82, v3, 16                                 // 00000000782C: D2890052 00012103
	s_lshr_b32 s61, s82, 24                                    // 000000007834: 8F3D9852
	s_and_b32 s82, s82, 0xffffff                               // 000000007838: 8652FF52 00FFFFFF
	s_mul_i32 s82, s82, s71                                    // 000000007840: 92524752
	s_mul_i32 s61, s60, s61                                    // 000000007844: 923D3D3C
	s_add_u32 s82, s82, s61                                    // 000000007848: 80523D52
	v_mul_lo_u32 v6, v5, s82                                   // 00000000784C: D2850006 0000A505
	v_readlane_b32 s82, v3, 17                                 // 000000007854: D2890052 00012303
	s_lshr_b32 s61, s82, 24                                    // 00000000785C: 8F3D9852
	s_and_b32 s82, s82, 0xffffff                               // 000000007860: 8652FF52 00FFFFFF
	s_mul_i32 s82, s82, s71                                    // 000000007868: 92524752
	s_mul_i32 s61, s60, s61                                    // 00000000786C: 923D3D3C
	s_add_u32 s82, s82, s61                                    // 000000007870: 80523D52
	v_mul_lo_u32 v7, v4, s82                                   // 000000007874: D2850007 0000A504
	v_add_u32_e32 v66, v6, v7                                  // 00000000787C: 68840F06
	v_readlane_b32 s82, v3, 18                                 // 000000007880: D2890052 00012503
	s_lshr_b32 s61, s82, 24                                    // 000000007888: 8F3D9852
	s_and_b32 s82, s82, 0xffffff                               // 00000000788C: 8652FF52 00FFFFFF
	s_mul_i32 s82, s82, s71                                    // 000000007894: 92524752
	s_mul_i32 s61, s60, s61                                    // 000000007898: 923D3D3C
	s_add_u32 s82, s82, s61                                    // 00000000789C: 80523D52
	v_mul_lo_u32 v6, v5, s82                                   // 0000000078A0: D2850006 0000A505
	v_readlane_b32 s82, v3, 19                                 // 0000000078A8: D2890052 00012703
	s_lshr_b32 s61, s82, 24                                    // 0000000078B0: 8F3D9852
	s_and_b32 s82, s82, 0xffffff                               // 0000000078B4: 8652FF52 00FFFFFF
	s_mul_i32 s82, s82, s71                                    // 0000000078BC: 92524752
	s_mul_i32 s61, s60, s61                                    // 0000000078C0: 923D3D3C
	s_add_u32 s82, s82, s61                                    // 0000000078C4: 80523D52
	v_mul_lo_u32 v7, v4, s82                                   // 0000000078C8: D2850007 0000A504
	v_add_u32_e32 v67, v6, v7                                  // 0000000078D0: 68860F06
	v_readlane_b32 s82, v3, 20                                 // 0000000078D4: D2890052 00012903
	s_lshr_b32 s61, s82, 24                                    // 0000000078DC: 8F3D9852
	s_and_b32 s82, s82, 0xffffff                               // 0000000078E0: 8652FF52 00FFFFFF
	s_mul_i32 s82, s82, s71                                    // 0000000078E8: 92524752
	s_mul_i32 s61, s60, s61                                    // 0000000078EC: 923D3D3C
	s_add_u32 s82, s82, s61                                    // 0000000078F0: 80523D52
	v_mul_lo_u32 v6, v5, s82                                   // 0000000078F4: D2850006 0000A505
	v_readlane_b32 s82, v3, 21                                 // 0000000078FC: D2890052 00012B03
	s_lshr_b32 s61, s82, 24                                    // 000000007904: 8F3D9852
	s_and_b32 s82, s82, 0xffffff                               // 000000007908: 8652FF52 00FFFFFF
	s_mul_i32 s82, s82, s71                                    // 000000007910: 92524752
	s_mul_i32 s61, s60, s61                                    // 000000007914: 923D3D3C
	s_add_u32 s82, s82, s61                                    // 000000007918: 80523D52
	v_mul_lo_u32 v7, v4, s82                                   // 00000000791C: D2850007 0000A504
	v_add_u32_e32 v68, v6, v7                                  // 000000007924: 68880F06
	v_readlane_b32 s82, v3, 22                                 // 000000007928: D2890052 00012D03
	s_lshr_b32 s61, s82, 24                                    // 000000007930: 8F3D9852
	s_and_b32 s82, s82, 0xffffff                               // 000000007934: 8652FF52 00FFFFFF
	s_mul_i32 s82, s82, s71                                    // 00000000793C: 92524752
	s_mul_i32 s61, s60, s61                                    // 000000007940: 923D3D3C
	s_add_u32 s82, s82, s61                                    // 000000007944: 80523D52
	v_mul_lo_u32 v6, v5, s82                                   // 000000007948: D2850006 0000A505
	v_readlane_b32 s82, v3, 23                                 // 000000007950: D2890052 00012F03
	s_lshr_b32 s61, s82, 24                                    // 000000007958: 8F3D9852
	s_and_b32 s82, s82, 0xffffff                               // 00000000795C: 8652FF52 00FFFFFF
	s_mul_i32 s82, s82, s71                                    // 000000007964: 92524752
	s_mul_i32 s61, s60, s61                                    // 000000007968: 923D3D3C
	s_add_u32 s82, s82, s61                                    // 00000000796C: 80523D52
	v_mul_lo_u32 v7, v4, s82                                   // 000000007970: D2850007 0000A504
	v_add_u32_e32 v69, v6, v7                                  // 000000007978: 688A0F06
	v_readlane_b32 s82, v3, 24                                 // 00000000797C: D2890052 00013103
	s_lshr_b32 s61, s82, 24                                    // 000000007984: 8F3D9852
	s_and_b32 s82, s82, 0xffffff                               // 000000007988: 8652FF52 00FFFFFF
	s_mul_i32 s82, s82, s71                                    // 000000007990: 92524752
	s_mul_i32 s61, s60, s61                                    // 000000007994: 923D3D3C
	s_add_u32 s82, s82, s61                                    // 000000007998: 80523D52
	v_mul_lo_u32 v6, v5, s82                                   // 00000000799C: D2850006 0000A505
	v_readlane_b32 s82, v3, 25                                 // 0000000079A4: D2890052 00013303
	s_lshr_b32 s61, s82, 24                                    // 0000000079AC: 8F3D9852
	s_and_b32 s82, s82, 0xffffff                               // 0000000079B0: 8652FF52 00FFFFFF
	s_mul_i32 s82, s82, s71                                    // 0000000079B8: 92524752
	s_mul_i32 s61, s60, s61                                    // 0000000079BC: 923D3D3C
	s_add_u32 s82, s82, s61                                    // 0000000079C0: 80523D52
	v_mul_lo_u32 v7, v4, s82                                   // 0000000079C4: D2850007 0000A504
	v_add_u32_e32 v70, v6, v7                                  // 0000000079CC: 688C0F06
	v_readlane_b32 s82, v3, 26                                 // 0000000079D0: D2890052 00013503
	s_lshr_b32 s61, s82, 24                                    // 0000000079D8: 8F3D9852
	s_and_b32 s82, s82, 0xffffff                               // 0000000079DC: 8652FF52 00FFFFFF
	s_mul_i32 s82, s82, s71                                    // 0000000079E4: 92524752
	s_mul_i32 s61, s60, s61                                    // 0000000079E8: 923D3D3C
	s_add_u32 s82, s82, s61                                    // 0000000079EC: 80523D52
	v_mul_lo_u32 v6, v5, s82                                   // 0000000079F0: D2850006 0000A505
	v_readlane_b32 s82, v3, 27                                 // 0000000079F8: D2890052 00013703
	s_lshr_b32 s61, s82, 24                                    // 000000007A00: 8F3D9852
	s_and_b32 s82, s82, 0xffffff                               // 000000007A04: 8652FF52 00FFFFFF
	s_mul_i32 s82, s82, s71                                    // 000000007A0C: 92524752
	s_mul_i32 s61, s60, s61                                    // 000000007A10: 923D3D3C
	s_add_u32 s82, s82, s61                                    // 000000007A14: 80523D52
	v_mul_lo_u32 v7, v4, s82                                   // 000000007A18: D2850007 0000A504
	v_add_u32_e32 v71, v6, v7                                  // 000000007A20: 688E0F06
	v_and_b32_e32 v4, 31, v0                                   // 000000007A24: 2608009F
	v_lshrrev_b32_e32 v4, 1, v4                                // 000000007A28: 20080881
	s_cmp_eq_u32 s88, 0                                        // 000000007A2C: BF068058
	s_cselect_b32 s61, 2, 4                                    // 000000007A30: 853D8482
	v_mul_lo_u32 v4, v4, s61                                   // 000000007A34: D2850004 00007B04
	v_and_b32_e64 v5, v0, 1                                    // 000000007A3C: D1130005 00010300
	v_add_u32_e32 v4, v4, v5                                   // 000000007A44: 68080B04
	v_lshlrev_b32_e32 v4, 2, v4                                // 000000007A48: 24080882
	v_add_u32_e32 v58, v58, v4                                 // 000000007A4C: 6874093A
	v_add_u32_e32 v59, v59, v4                                 // 000000007A50: 6876093B
	v_add_u32_e32 v60, v60, v4                                 // 000000007A54: 6878093C
	v_add_u32_e32 v61, v61, v4                                 // 000000007A58: 687A093D
	v_add_u32_e32 v62, v62, v4                                 // 000000007A5C: 687C093E
	v_add_u32_e32 v63, v63, v4                                 // 000000007A60: 687E093F
	v_add_u32_e32 v64, v64, v4                                 // 000000007A64: 68800940
	v_add_u32_e32 v65, v65, v4                                 // 000000007A68: 68820941
	v_add_u32_e32 v66, v66, v4                                 // 000000007A6C: 68840942
	v_add_u32_e32 v67, v67, v4                                 // 000000007A70: 68860943
	v_add_u32_e32 v68, v68, v4                                 // 000000007A74: 68880944
	v_add_u32_e32 v69, v69, v4                                 // 000000007A78: 688A0945
	v_add_u32_e32 v70, v70, v4                                 // 000000007A7C: 688C0946
	v_add_u32_e32 v71, v71, v4                                 // 000000007A80: 688E0947
	s_waitcnt lgkmcnt(0)                                       // 000000007A84: BF8CC07F
	s_barrier                                                  // 000000007A88: BF8A0000
	ds_read_b32 v76, v21                                       // 000000007A8C: D86C0000 4C000015
	ds_read_b32 v77, v21 offset:64                             // 000000007A94: D86C0040 4D000015
	ds_read_b32 v78, v21 offset:2176                           // 000000007A9C: D86C0880 4E000015
	ds_read_b32 v79, v21 offset:2240                           // 000000007AA4: D86C08C0 4F000015
	ds_read_b32 v80, v21 offset:4352                           // 000000007AAC: D86C1100 50000015
	ds_read_b32 v81, v21 offset:4416                           // 000000007AB4: D86C1140 51000015
	ds_read_b32 v82, v21 offset:6528                           // 000000007ABC: D86C1980 52000015
	ds_read_b32 v83, v21 offset:6592                           // 000000007AC4: D86C19C0 53000015
	ds_read_b32 v84, v21 offset:8704                           // 000000007ACC: D86C2200 54000015
	ds_read_b32 v85, v21 offset:8768                           // 000000007AD4: D86C2240 55000015
	ds_read_b32 v86, v21 offset:10880                          // 000000007ADC: D86C2A80 56000015
	ds_read_b32 v87, v21 offset:10944                          // 000000007AE4: D86C2AC0 57000015
	ds_read_b32 v88, v21 offset:13056                          // 000000007AEC: D86C3300 58000015
	ds_read_b32 v89, v21 offset:13120                          // 000000007AF4: D86C3340 59000015
	ds_read_b32 v90, v21 offset:15232                          // 000000007AFC: D86C3B80 5A000015
	ds_read_b32 v91, v21 offset:15296                          // 000000007B04: D86C3BC0 5B000015
	ds_read_b32 v92, v21 offset:17408                          // 000000007B0C: D86C4400 5C000015
	ds_read_b32 v93, v21 offset:17472                          // 000000007B14: D86C4440 5D000015
	ds_read_b32 v94, v21 offset:19584                          // 000000007B1C: D86C4C80 5E000015
	ds_read_b32 v95, v21 offset:19648                          // 000000007B24: D86C4CC0 5F000015
	ds_read_b32 v96, v21 offset:21760                          // 000000007B2C: D86C5500 60000015
	ds_read_b32 v97, v21 offset:21824                          // 000000007B34: D86C5540 61000015
	ds_read_b32 v98, v21 offset:23936                          // 000000007B3C: D86C5D80 62000015
	ds_read_b32 v99, v21 offset:24000                          // 000000007B44: D86C5DC0 63000015
	ds_read_b32 v100, v21 offset:26112                         // 000000007B4C: D86C6600 64000015
	ds_read_b32 v101, v21 offset:26176                         // 000000007B54: D86C6640 65000015
	ds_read_b32 v102, v21 offset:28288                         // 000000007B5C: D86C6E80 66000015
	ds_read_b32 v103, v21 offset:28352                         // 000000007B64: D86C6EC0 67000015
	s_waitcnt lgkmcnt(0)                                       // 000000007B6C: BF8CC07F
	s_mov_b32 s36, -1                                          // 000000007B70: BEA400C1
	s_mov_b32 s37, -1                                          // 000000007B74: BEA500C1
	v_mov_b32_e32 v7, 0                                        // 000000007B78: 7E0E0280
	s_or_b32 s9, s9, 0x40000                                   // 000000007B7C: 8709FF09 00040000
	s_mov_b64 exec, s[36:37]                                   // 000000007B84: BEFE0124
	v_mov_b32_e32 v6, v58                                      // 000000007B88: 7E0C033A
	s_mov_b64 s[60:61], 0                                      // 000000007B8C: BEBC0180
	v_readlane_b32 s82, v3, 0                                  // 000000007B90: D2890052 00010103
	s_and_b32 s82, s82, 0xffffff                               // 000000007B98: 8652FF52 00FFFFFF
	s_cmp_lt_u32 s82, s66                                      // 000000007BA0: BF0A4252
	s_cselect_b32 s20, s36, s60                                // 000000007BA4: 85143C24
	v_readlane_b32 s82, v3, 1                                  // 000000007BA8: D2890052 00010303
	s_and_b32 s82, s82, 0xffffff                               // 000000007BB0: 8652FF52 00FFFFFF
	s_cmp_lt_u32 s82, s66                                      // 000000007BB8: BF0A4252
	s_cselect_b32 s21, s36, s60                                // 000000007BBC: 85153C24
	s_mov_b64 exec, s[20:21]                                   // 000000007BC0: BEFE0114
	buffer_store_dword v76, v6, s[8:11], 0 offen               // 000000007BC4: E0701000 80024C06
	buffer_store_dword v78, v6, s[8:11], 0 offen offset:128    // 000000007BCC: E0701080 80024E06
	s_mov_b64 exec, s[36:37]                                   // 000000007BD4: BEFE0124
	v_mov_b32_e32 v6, v59                                      // 000000007BD8: 7E0C033B
	s_mov_b64 s[60:61], 0                                      // 000000007BDC: BEBC0180
	v_readlane_b32 s82, v3, 2                                  // 000000007BE0: D2890052 00010503
	s_and_b32 s82, s82, 0xffffff                               // 000000007BE8: 8652FF52 00FFFFFF
	s_cmp_lt_u32 s82, s66                                      // 000000007BF0: BF0A4252
	s_cselect_b32 s20, s36, s60                                // 000000007BF4: 85143C24
	v_readlane_b32 s82, v3, 3                                  // 000000007BF8: D2890052 00010703
	s_and_b32 s82, s82, 0xffffff                               // 000000007C00: 8652FF52 00FFFFFF
	s_cmp_lt_u32 s82, s66                                      // 000000007C08: BF0A4252
	s_cselect_b32 s21, s36, s60                                // 000000007C0C: 85153C24
	s_mov_b64 exec, s[20:21]                                   // 000000007C10: BEFE0114
	buffer_store_dword v77, v6, s[8:11], 0 offen               // 000000007C14: E0701000 80024D06
	buffer_store_dword v79, v6, s[8:11], 0 offen offset:128    // 000000007C1C: E0701080 80024F06
	s_mov_b64 exec, s[36:37]                                   // 000000007C24: BEFE0124
	v_mov_b32_e32 v6, v60                                      // 000000007C28: 7E0C033C
	s_mov_b64 s[60:61], 0                                      // 000000007C2C: BEBC0180
	v_readlane_b32 s82, v3, 4                                  // 000000007C30: D2890052 00010903
	s_and_b32 s82, s82, 0xffffff                               // 000000007C38: 8652FF52 00FFFFFF
	s_cmp_lt_u32 s82, s66                                      // 000000007C40: BF0A4252
	s_cselect_b32 s20, s36, s60                                // 000000007C44: 85143C24
	v_readlane_b32 s82, v3, 5                                  // 000000007C48: D2890052 00010B03
	s_and_b32 s82, s82, 0xffffff                               // 000000007C50: 8652FF52 00FFFFFF
	s_cmp_lt_u32 s82, s66                                      // 000000007C58: BF0A4252
	s_cselect_b32 s21, s36, s60                                // 000000007C5C: 85153C24
	s_mov_b64 exec, s[20:21]                                   // 000000007C60: BEFE0114
	buffer_store_dword v80, v6, s[8:11], 0 offen               // 000000007C64: E0701000 80025006
	buffer_store_dword v82, v6, s[8:11], 0 offen offset:128    // 000000007C6C: E0701080 80025206
	s_mov_b64 exec, s[36:37]                                   // 000000007C74: BEFE0124
	v_mov_b32_e32 v6, v61                                      // 000000007C78: 7E0C033D
	s_mov_b64 s[60:61], 0                                      // 000000007C7C: BEBC0180
	v_readlane_b32 s82, v3, 6                                  // 000000007C80: D2890052 00010D03
	s_and_b32 s82, s82, 0xffffff                               // 000000007C88: 8652FF52 00FFFFFF
	s_cmp_lt_u32 s82, s66                                      // 000000007C90: BF0A4252
	s_cselect_b32 s20, s36, s60                                // 000000007C94: 85143C24
	v_readlane_b32 s82, v3, 7                                  // 000000007C98: D2890052 00010F03
	s_and_b32 s82, s82, 0xffffff                               // 000000007CA0: 8652FF52 00FFFFFF
	s_cmp_lt_u32 s82, s66                                      // 000000007CA8: BF0A4252
	s_cselect_b32 s21, s36, s60                                // 000000007CAC: 85153C24
	s_mov_b64 exec, s[20:21]                                   // 000000007CB0: BEFE0114
	buffer_store_dword v81, v6, s[8:11], 0 offen               // 000000007CB4: E0701000 80025106
	buffer_store_dword v83, v6, s[8:11], 0 offen offset:128    // 000000007CBC: E0701080 80025306
	s_mov_b64 exec, s[36:37]                                   // 000000007CC4: BEFE0124
	v_mov_b32_e32 v6, v62                                      // 000000007CC8: 7E0C033E
	s_mov_b64 s[60:61], 0                                      // 000000007CCC: BEBC0180
	v_readlane_b32 s82, v3, 8                                  // 000000007CD0: D2890052 00011103
	s_and_b32 s82, s82, 0xffffff                               // 000000007CD8: 8652FF52 00FFFFFF
	s_cmp_lt_u32 s82, s66                                      // 000000007CE0: BF0A4252
	s_cselect_b32 s20, s36, s60                                // 000000007CE4: 85143C24
	v_readlane_b32 s82, v3, 9                                  // 000000007CE8: D2890052 00011303
	s_and_b32 s82, s82, 0xffffff                               // 000000007CF0: 8652FF52 00FFFFFF
	s_cmp_lt_u32 s82, s66                                      // 000000007CF8: BF0A4252
	s_cselect_b32 s21, s36, s60                                // 000000007CFC: 85153C24
	s_mov_b64 exec, s[20:21]                                   // 000000007D00: BEFE0114
	buffer_store_dword v84, v6, s[8:11], 0 offen               // 000000007D04: E0701000 80025406
	buffer_store_dword v86, v6, s[8:11], 0 offen offset:128    // 000000007D0C: E0701080 80025606
	s_mov_b64 exec, s[36:37]                                   // 000000007D14: BEFE0124
	v_mov_b32_e32 v6, v63                                      // 000000007D18: 7E0C033F
	s_mov_b64 s[60:61], 0                                      // 000000007D1C: BEBC0180
	v_readlane_b32 s82, v3, 10                                 // 000000007D20: D2890052 00011503
	s_and_b32 s82, s82, 0xffffff                               // 000000007D28: 8652FF52 00FFFFFF
	s_cmp_lt_u32 s82, s66                                      // 000000007D30: BF0A4252
	s_cselect_b32 s20, s36, s60                                // 000000007D34: 85143C24
	v_readlane_b32 s82, v3, 11                                 // 000000007D38: D2890052 00011703
	s_and_b32 s82, s82, 0xffffff                               // 000000007D40: 8652FF52 00FFFFFF
	s_cmp_lt_u32 s82, s66                                      // 000000007D48: BF0A4252
	s_cselect_b32 s21, s36, s60                                // 000000007D4C: 85153C24
	s_mov_b64 exec, s[20:21]                                   // 000000007D50: BEFE0114
	buffer_store_dword v85, v6, s[8:11], 0 offen               // 000000007D54: E0701000 80025506
	buffer_store_dword v87, v6, s[8:11], 0 offen offset:128    // 000000007D5C: E0701080 80025706
	s_mov_b64 exec, s[36:37]                                   // 000000007D64: BEFE0124
	v_mov_b32_e32 v6, v64                                      // 000000007D68: 7E0C0340
	s_mov_b64 s[60:61], 0                                      // 000000007D6C: BEBC0180
	v_readlane_b32 s82, v3, 12                                 // 000000007D70: D2890052 00011903
	s_and_b32 s82, s82, 0xffffff                               // 000000007D78: 8652FF52 00FFFFFF
	s_cmp_lt_u32 s82, s66                                      // 000000007D80: BF0A4252
	s_cselect_b32 s20, s36, s60                                // 000000007D84: 85143C24
	v_readlane_b32 s82, v3, 13                                 // 000000007D88: D2890052 00011B03
	s_and_b32 s82, s82, 0xffffff                               // 000000007D90: 8652FF52 00FFFFFF
	s_cmp_lt_u32 s82, s66                                      // 000000007D98: BF0A4252
	s_cselect_b32 s21, s36, s60                                // 000000007D9C: 85153C24
	s_mov_b64 exec, s[20:21]                                   // 000000007DA0: BEFE0114
	buffer_store_dword v88, v6, s[8:11], 0 offen               // 000000007DA4: E0701000 80025806
	buffer_store_dword v90, v6, s[8:11], 0 offen offset:128    // 000000007DAC: E0701080 80025A06
	s_mov_b64 exec, s[36:37]                                   // 000000007DB4: BEFE0124
	v_mov_b32_e32 v6, v65                                      // 000000007DB8: 7E0C0341
	s_mov_b64 s[60:61], 0                                      // 000000007DBC: BEBC0180
	v_readlane_b32 s82, v3, 14                                 // 000000007DC0: D2890052 00011D03
	s_and_b32 s82, s82, 0xffffff                               // 000000007DC8: 8652FF52 00FFFFFF
	s_cmp_lt_u32 s82, s66                                      // 000000007DD0: BF0A4252
	s_cselect_b32 s20, s36, s60                                // 000000007DD4: 85143C24
	v_readlane_b32 s82, v3, 15                                 // 000000007DD8: D2890052 00011F03
	s_and_b32 s82, s82, 0xffffff                               // 000000007DE0: 8652FF52 00FFFFFF
	s_cmp_lt_u32 s82, s66                                      // 000000007DE8: BF0A4252
	s_cselect_b32 s21, s36, s60                                // 000000007DEC: 85153C24
	s_mov_b64 exec, s[20:21]                                   // 000000007DF0: BEFE0114
	buffer_store_dword v89, v6, s[8:11], 0 offen               // 000000007DF4: E0701000 80025906
	buffer_store_dword v91, v6, s[8:11], 0 offen offset:128    // 000000007DFC: E0701080 80025B06
	s_mov_b64 exec, s[36:37]                                   // 000000007E04: BEFE0124
	v_mov_b32_e32 v6, v66                                      // 000000007E08: 7E0C0342
	s_mov_b64 s[60:61], 0                                      // 000000007E0C: BEBC0180
	v_readlane_b32 s82, v3, 16                                 // 000000007E10: D2890052 00012103
	s_and_b32 s82, s82, 0xffffff                               // 000000007E18: 8652FF52 00FFFFFF
	s_cmp_lt_u32 s82, s66                                      // 000000007E20: BF0A4252
	s_cselect_b32 s20, s36, s60                                // 000000007E24: 85143C24
	v_readlane_b32 s82, v3, 17                                 // 000000007E28: D2890052 00012303
	s_and_b32 s82, s82, 0xffffff                               // 000000007E30: 8652FF52 00FFFFFF
	s_cmp_lt_u32 s82, s66                                      // 000000007E38: BF0A4252
	s_cselect_b32 s21, s36, s60                                // 000000007E3C: 85153C24
	s_mov_b64 exec, s[20:21]                                   // 000000007E40: BEFE0114
	buffer_store_dword v92, v6, s[8:11], 0 offen               // 000000007E44: E0701000 80025C06
	buffer_store_dword v94, v6, s[8:11], 0 offen offset:128    // 000000007E4C: E0701080 80025E06
	s_mov_b64 exec, s[36:37]                                   // 000000007E54: BEFE0124
	v_mov_b32_e32 v6, v67                                      // 000000007E58: 7E0C0343
	s_mov_b64 s[60:61], 0                                      // 000000007E5C: BEBC0180
	v_readlane_b32 s82, v3, 18                                 // 000000007E60: D2890052 00012503
	s_and_b32 s82, s82, 0xffffff                               // 000000007E68: 8652FF52 00FFFFFF
	s_cmp_lt_u32 s82, s66                                      // 000000007E70: BF0A4252
	s_cselect_b32 s20, s36, s60                                // 000000007E74: 85143C24
	v_readlane_b32 s82, v3, 19                                 // 000000007E78: D2890052 00012703
	s_and_b32 s82, s82, 0xffffff                               // 000000007E80: 8652FF52 00FFFFFF
	s_cmp_lt_u32 s82, s66                                      // 000000007E88: BF0A4252
	s_cselect_b32 s21, s36, s60                                // 000000007E8C: 85153C24
	s_mov_b64 exec, s[20:21]                                   // 000000007E90: BEFE0114
	buffer_store_dword v93, v6, s[8:11], 0 offen               // 000000007E94: E0701000 80025D06
	buffer_store_dword v95, v6, s[8:11], 0 offen offset:128    // 000000007E9C: E0701080 80025F06
	s_mov_b64 exec, s[36:37]                                   // 000000007EA4: BEFE0124
	v_mov_b32_e32 v6, v68                                      // 000000007EA8: 7E0C0344
	s_mov_b64 s[60:61], 0                                      // 000000007EAC: BEBC0180
	v_readlane_b32 s82, v3, 20                                 // 000000007EB0: D2890052 00012903
	s_and_b32 s82, s82, 0xffffff                               // 000000007EB8: 8652FF52 00FFFFFF
	s_cmp_lt_u32 s82, s66                                      // 000000007EC0: BF0A4252
	s_cselect_b32 s20, s36, s60                                // 000000007EC4: 85143C24
	v_readlane_b32 s82, v3, 21                                 // 000000007EC8: D2890052 00012B03
	s_and_b32 s82, s82, 0xffffff                               // 000000007ED0: 8652FF52 00FFFFFF
	s_cmp_lt_u32 s82, s66                                      // 000000007ED8: BF0A4252
	s_cselect_b32 s21, s36, s60                                // 000000007EDC: 85153C24
	s_mov_b64 exec, s[20:21]                                   // 000000007EE0: BEFE0114
	buffer_store_dword v96, v6, s[8:11], 0 offen               // 000000007EE4: E0701000 80026006
	buffer_store_dword v98, v6, s[8:11], 0 offen offset:128    // 000000007EEC: E0701080 80026206
	s_mov_b64 exec, s[36:37]                                   // 000000007EF4: BEFE0124
	v_mov_b32_e32 v6, v69                                      // 000000007EF8: 7E0C0345
	s_mov_b64 s[60:61], 0                                      // 000000007EFC: BEBC0180
	v_readlane_b32 s82, v3, 22                                 // 000000007F00: D2890052 00012D03
	s_and_b32 s82, s82, 0xffffff                               // 000000007F08: 8652FF52 00FFFFFF
	s_cmp_lt_u32 s82, s66                                      // 000000007F10: BF0A4252
	s_cselect_b32 s20, s36, s60                                // 000000007F14: 85143C24
	v_readlane_b32 s82, v3, 23                                 // 000000007F18: D2890052 00012F03
	s_and_b32 s82, s82, 0xffffff                               // 000000007F20: 8652FF52 00FFFFFF
	s_cmp_lt_u32 s82, s66                                      // 000000007F28: BF0A4252
	s_cselect_b32 s21, s36, s60                                // 000000007F2C: 85153C24
	s_mov_b64 exec, s[20:21]                                   // 000000007F30: BEFE0114
	buffer_store_dword v97, v6, s[8:11], 0 offen               // 000000007F34: E0701000 80026106
	buffer_store_dword v99, v6, s[8:11], 0 offen offset:128    // 000000007F3C: E0701080 80026306
	s_mov_b64 exec, s[36:37]                                   // 000000007F44: BEFE0124
	v_mov_b32_e32 v6, v70                                      // 000000007F48: 7E0C0346
	s_mov_b64 s[60:61], 0                                      // 000000007F4C: BEBC0180
	v_readlane_b32 s82, v3, 24                                 // 000000007F50: D2890052 00013103
	s_and_b32 s82, s82, 0xffffff                               // 000000007F58: 8652FF52 00FFFFFF
	s_cmp_lt_u32 s82, s66                                      // 000000007F60: BF0A4252
	s_cselect_b32 s20, s36, s60                                // 000000007F64: 85143C24
	v_readlane_b32 s82, v3, 25                                 // 000000007F68: D2890052 00013303
	s_and_b32 s82, s82, 0xffffff                               // 000000007F70: 8652FF52 00FFFFFF
	s_cmp_lt_u32 s82, s66                                      // 000000007F78: BF0A4252
	s_cselect_b32 s21, s36, s60                                // 000000007F7C: 85153C24
	s_mov_b64 exec, s[20:21]                                   // 000000007F80: BEFE0114
	buffer_store_dword v100, v6, s[8:11], 0 offen              // 000000007F84: E0701000 80026406
	buffer_store_dword v102, v6, s[8:11], 0 offen offset:128   // 000000007F8C: E0701080 80026606
	s_mov_b64 exec, s[36:37]                                   // 000000007F94: BEFE0124
	v_mov_b32_e32 v6, v71                                      // 000000007F98: 7E0C0347
	s_mov_b64 s[60:61], 0                                      // 000000007F9C: BEBC0180
	v_readlane_b32 s82, v3, 26                                 // 000000007FA0: D2890052 00013503
	s_and_b32 s82, s82, 0xffffff                               // 000000007FA8: 8652FF52 00FFFFFF
	s_cmp_lt_u32 s82, s66                                      // 000000007FB0: BF0A4252
	s_cselect_b32 s20, s36, s60                                // 000000007FB4: 85143C24
	v_readlane_b32 s82, v3, 27                                 // 000000007FB8: D2890052 00013703
	s_and_b32 s82, s82, 0xffffff                               // 000000007FC0: 8652FF52 00FFFFFF
	s_cmp_lt_u32 s82, s66                                      // 000000007FC8: BF0A4252
	s_cselect_b32 s21, s36, s60                                // 000000007FCC: 85153C24
	s_mov_b64 exec, s[20:21]                                   // 000000007FD0: BEFE0114
	buffer_store_dword v101, v6, s[8:11], 0 offen              // 000000007FD4: E0701000 80026506
	buffer_store_dword v103, v6, s[8:11], 0 offen offset:128   // 000000007FDC: E0701080 80026706
	s_mov_b64 exec, s[36:37]                                   // 000000007FE4: BEFE0124
	s_branch label_35C6                                        // 000000007FE8: BF822048

0000000000007fec <label_157B>:
	ds_write_b64 v20, v[76:77]                                 // 000000007FEC: D89A0000 00004C14
	ds_write_b64 v20, v[80:81] offset:4352                     // 000000007FF4: D89A1100 00005014
	ds_write_b64 v20, v[84:85] offset:8704                     // 000000007FFC: D89A2200 00005414
	ds_write_b64 v20, v[88:89] offset:13056                    // 000000008004: D89A3300 00005814
	ds_write_b64 v20, v[92:93] offset:17408                    // 00000000800C: D89A4400 00005C14
	ds_write_b64 v20, v[96:97] offset:21760                    // 000000008014: D89A5500 00006014
	ds_write_b64 v20, v[100:101] offset:26112                  // 00000000801C: D89A6600 00006414
	ds_write_b64 v20, v[104:105] offset:2176                   // 000000008024: D89A0880 00006814
	ds_write_b64 v20, v[108:109] offset:6528                   // 00000000802C: D89A1980 00006C14
	ds_write_b64 v20, v[112:113] offset:10880                  // 000000008034: D89A2A80 00007014
	ds_write_b64 v20, v[116:117] offset:15232                  // 00000000803C: D89A3B80 00007414
	ds_write_b64 v20, v[120:121] offset:19584                  // 000000008044: D89A4C80 00007814
	ds_write_b64 v20, v[124:125] offset:23936                  // 00000000804C: D89A5D80 00007C14
	ds_write_b64 v20, v[128:129] offset:28288                  // 000000008054: D89A6E80 00008014
	v_lshrrev_b32_e32 v4, 5, v0                                // 00000000805C: 20080085
	v_xor_b32_e32 v5, 1, v4                                    // 000000008060: 2A0A0881
	s_mul_i32 s60, s65, 2                                      // 000000008064: 923C8241
	s_cmp_eq_u32 s88, 0                                        // 000000008068: BF068058
	s_cselect_b32 s61, 1, 4                                    // 00000000806C: 853D8481
	s_mul_i32 s60, s61, s60                                    // 000000008070: 923C3C3D
	v_readlane_b32 s82, v3, 0                                  // 000000008074: D2890052 00010103
	s_lshr_b32 s61, s82, 24                                    // 00000000807C: 8F3D9852
	s_and_b32 s82, s82, 0xffffff                               // 000000008080: 8652FF52 00FFFFFF
	s_mul_i32 s82, s82, s71                                    // 000000008088: 92524752
	s_mul_i32 s61, s60, s61                                    // 00000000808C: 923D3D3C
	s_add_u32 s82, s82, s61                                    // 000000008090: 80523D52
	v_mul_lo_u32 v6, v5, s82                                   // 000000008094: D2850006 0000A505
	v_readlane_b32 s82, v3, 1                                  // 00000000809C: D2890052 00010303
	s_lshr_b32 s61, s82, 24                                    // 0000000080A4: 8F3D9852
	s_and_b32 s82, s82, 0xffffff                               // 0000000080A8: 8652FF52 00FFFFFF
	s_mul_i32 s82, s82, s71                                    // 0000000080B0: 92524752
	s_mul_i32 s61, s60, s61                                    // 0000000080B4: 923D3D3C
	s_add_u32 s82, s82, s61                                    // 0000000080B8: 80523D52
	v_mul_lo_u32 v7, v4, s82                                   // 0000000080BC: D2850007 0000A504
	v_add_u32_e32 v58, v6, v7                                  // 0000000080C4: 68740F06
	v_readlane_b32 s82, v3, 2                                  // 0000000080C8: D2890052 00010503
	s_lshr_b32 s61, s82, 24                                    // 0000000080D0: 8F3D9852
	s_and_b32 s82, s82, 0xffffff                               // 0000000080D4: 8652FF52 00FFFFFF
	s_mul_i32 s82, s82, s71                                    // 0000000080DC: 92524752
	s_mul_i32 s61, s60, s61                                    // 0000000080E0: 923D3D3C
	s_add_u32 s82, s82, s61                                    // 0000000080E4: 80523D52
	v_mul_lo_u32 v6, v5, s82                                   // 0000000080E8: D2850006 0000A505
	v_readlane_b32 s82, v3, 3                                  // 0000000080F0: D2890052 00010703
	s_lshr_b32 s61, s82, 24                                    // 0000000080F8: 8F3D9852
	s_and_b32 s82, s82, 0xffffff                               // 0000000080FC: 8652FF52 00FFFFFF
	s_mul_i32 s82, s82, s71                                    // 000000008104: 92524752
	s_mul_i32 s61, s60, s61                                    // 000000008108: 923D3D3C
	s_add_u32 s82, s82, s61                                    // 00000000810C: 80523D52
	v_mul_lo_u32 v7, v4, s82                                   // 000000008110: D2850007 0000A504
	v_add_u32_e32 v59, v6, v7                                  // 000000008118: 68760F06
	v_readlane_b32 s82, v3, 4                                  // 00000000811C: D2890052 00010903
	s_lshr_b32 s61, s82, 24                                    // 000000008124: 8F3D9852
	s_and_b32 s82, s82, 0xffffff                               // 000000008128: 8652FF52 00FFFFFF
	s_mul_i32 s82, s82, s71                                    // 000000008130: 92524752
	s_mul_i32 s61, s60, s61                                    // 000000008134: 923D3D3C
	s_add_u32 s82, s82, s61                                    // 000000008138: 80523D52
	v_mul_lo_u32 v6, v5, s82                                   // 00000000813C: D2850006 0000A505
	v_readlane_b32 s82, v3, 5                                  // 000000008144: D2890052 00010B03
	s_lshr_b32 s61, s82, 24                                    // 00000000814C: 8F3D9852
	s_and_b32 s82, s82, 0xffffff                               // 000000008150: 8652FF52 00FFFFFF
	s_mul_i32 s82, s82, s71                                    // 000000008158: 92524752
	s_mul_i32 s61, s60, s61                                    // 00000000815C: 923D3D3C
	s_add_u32 s82, s82, s61                                    // 000000008160: 80523D52
	v_mul_lo_u32 v7, v4, s82                                   // 000000008164: D2850007 0000A504
	v_add_u32_e32 v60, v6, v7                                  // 00000000816C: 68780F06
	v_readlane_b32 s82, v3, 6                                  // 000000008170: D2890052 00010D03
	s_lshr_b32 s61, s82, 24                                    // 000000008178: 8F3D9852
	s_and_b32 s82, s82, 0xffffff                               // 00000000817C: 8652FF52 00FFFFFF
	s_mul_i32 s82, s82, s71                                    // 000000008184: 92524752
	s_mul_i32 s61, s60, s61                                    // 000000008188: 923D3D3C
	s_add_u32 s82, s82, s61                                    // 00000000818C: 80523D52
	v_mul_lo_u32 v6, v5, s82                                   // 000000008190: D2850006 0000A505
	v_readlane_b32 s82, v3, 7                                  // 000000008198: D2890052 00010F03
	s_lshr_b32 s61, s82, 24                                    // 0000000081A0: 8F3D9852
	s_and_b32 s82, s82, 0xffffff                               // 0000000081A4: 8652FF52 00FFFFFF
	s_mul_i32 s82, s82, s71                                    // 0000000081AC: 92524752
	s_mul_i32 s61, s60, s61                                    // 0000000081B0: 923D3D3C
	s_add_u32 s82, s82, s61                                    // 0000000081B4: 80523D52
	v_mul_lo_u32 v7, v4, s82                                   // 0000000081B8: D2850007 0000A504
	v_add_u32_e32 v61, v6, v7                                  // 0000000081C0: 687A0F06
	v_readlane_b32 s82, v3, 8                                  // 0000000081C4: D2890052 00011103
	s_lshr_b32 s61, s82, 24                                    // 0000000081CC: 8F3D9852
	s_and_b32 s82, s82, 0xffffff                               // 0000000081D0: 8652FF52 00FFFFFF
	s_mul_i32 s82, s82, s71                                    // 0000000081D8: 92524752
	s_mul_i32 s61, s60, s61                                    // 0000000081DC: 923D3D3C
	s_add_u32 s82, s82, s61                                    // 0000000081E0: 80523D52
	v_mul_lo_u32 v6, v5, s82                                   // 0000000081E4: D2850006 0000A505
	v_readlane_b32 s82, v3, 9                                  // 0000000081EC: D2890052 00011303
	s_lshr_b32 s61, s82, 24                                    // 0000000081F4: 8F3D9852
	s_and_b32 s82, s82, 0xffffff                               // 0000000081F8: 8652FF52 00FFFFFF
	s_mul_i32 s82, s82, s71                                    // 000000008200: 92524752
	s_mul_i32 s61, s60, s61                                    // 000000008204: 923D3D3C
	s_add_u32 s82, s82, s61                                    // 000000008208: 80523D52
	v_mul_lo_u32 v7, v4, s82                                   // 00000000820C: D2850007 0000A504
	v_add_u32_e32 v62, v6, v7                                  // 000000008214: 687C0F06
	v_readlane_b32 s82, v3, 10                                 // 000000008218: D2890052 00011503
	s_lshr_b32 s61, s82, 24                                    // 000000008220: 8F3D9852
	s_and_b32 s82, s82, 0xffffff                               // 000000008224: 8652FF52 00FFFFFF
	s_mul_i32 s82, s82, s71                                    // 00000000822C: 92524752
	s_mul_i32 s61, s60, s61                                    // 000000008230: 923D3D3C
	s_add_u32 s82, s82, s61                                    // 000000008234: 80523D52
	v_mul_lo_u32 v6, v5, s82                                   // 000000008238: D2850006 0000A505
	v_readlane_b32 s82, v3, 11                                 // 000000008240: D2890052 00011703
	s_lshr_b32 s61, s82, 24                                    // 000000008248: 8F3D9852
	s_and_b32 s82, s82, 0xffffff                               // 00000000824C: 8652FF52 00FFFFFF
	s_mul_i32 s82, s82, s71                                    // 000000008254: 92524752
	s_mul_i32 s61, s60, s61                                    // 000000008258: 923D3D3C
	s_add_u32 s82, s82, s61                                    // 00000000825C: 80523D52
	v_mul_lo_u32 v7, v4, s82                                   // 000000008260: D2850007 0000A504
	v_add_u32_e32 v63, v6, v7                                  // 000000008268: 687E0F06
	v_readlane_b32 s82, v3, 12                                 // 00000000826C: D2890052 00011903
	s_lshr_b32 s61, s82, 24                                    // 000000008274: 8F3D9852
	s_and_b32 s82, s82, 0xffffff                               // 000000008278: 8652FF52 00FFFFFF
	s_mul_i32 s82, s82, s71                                    // 000000008280: 92524752
	s_mul_i32 s61, s60, s61                                    // 000000008284: 923D3D3C
	s_add_u32 s82, s82, s61                                    // 000000008288: 80523D52
	v_mul_lo_u32 v6, v5, s82                                   // 00000000828C: D2850006 0000A505
	v_readlane_b32 s82, v3, 13                                 // 000000008294: D2890052 00011B03
	s_lshr_b32 s61, s82, 24                                    // 00000000829C: 8F3D9852
	s_and_b32 s82, s82, 0xffffff                               // 0000000082A0: 8652FF52 00FFFFFF
	s_mul_i32 s82, s82, s71                                    // 0000000082A8: 92524752
	s_mul_i32 s61, s60, s61                                    // 0000000082AC: 923D3D3C
	s_add_u32 s82, s82, s61                                    // 0000000082B0: 80523D52
	v_mul_lo_u32 v7, v4, s82                                   // 0000000082B4: D2850007 0000A504
	v_add_u32_e32 v64, v6, v7                                  // 0000000082BC: 68800F06
	v_readlane_b32 s82, v3, 14                                 // 0000000082C0: D2890052 00011D03
	s_lshr_b32 s61, s82, 24                                    // 0000000082C8: 8F3D9852
	s_and_b32 s82, s82, 0xffffff                               // 0000000082CC: 8652FF52 00FFFFFF
	s_mul_i32 s82, s82, s71                                    // 0000000082D4: 92524752
	s_mul_i32 s61, s60, s61                                    // 0000000082D8: 923D3D3C
	s_add_u32 s82, s82, s61                                    // 0000000082DC: 80523D52
	v_mul_lo_u32 v6, v5, s82                                   // 0000000082E0: D2850006 0000A505
	v_readlane_b32 s82, v3, 15                                 // 0000000082E8: D2890052 00011F03
	s_lshr_b32 s61, s82, 24                                    // 0000000082F0: 8F3D9852
	s_and_b32 s82, s82, 0xffffff                               // 0000000082F4: 8652FF52 00FFFFFF
	s_mul_i32 s82, s82, s71                                    // 0000000082FC: 92524752
	s_mul_i32 s61, s60, s61                                    // 000000008300: 923D3D3C
	s_add_u32 s82, s82, s61                                    // 000000008304: 80523D52
	v_mul_lo_u32 v7, v4, s82                                   // 000000008308: D2850007 0000A504
	v_add_u32_e32 v65, v6, v7                                  // 000000008310: 68820F06
	v_readlane_b32 s82, v3, 16                                 // 000000008314: D2890052 00012103
	s_lshr_b32 s61, s82, 24                                    // 00000000831C: 8F3D9852
	s_and_b32 s82, s82, 0xffffff                               // 000000008320: 8652FF52 00FFFFFF
	s_mul_i32 s82, s82, s71                                    // 000000008328: 92524752
	s_mul_i32 s61, s60, s61                                    // 00000000832C: 923D3D3C
	s_add_u32 s82, s82, s61                                    // 000000008330: 80523D52
	v_mul_lo_u32 v6, v5, s82                                   // 000000008334: D2850006 0000A505
	v_readlane_b32 s82, v3, 17                                 // 00000000833C: D2890052 00012303
	s_lshr_b32 s61, s82, 24                                    // 000000008344: 8F3D9852
	s_and_b32 s82, s82, 0xffffff                               // 000000008348: 8652FF52 00FFFFFF
	s_mul_i32 s82, s82, s71                                    // 000000008350: 92524752
	s_mul_i32 s61, s60, s61                                    // 000000008354: 923D3D3C
	s_add_u32 s82, s82, s61                                    // 000000008358: 80523D52
	v_mul_lo_u32 v7, v4, s82                                   // 00000000835C: D2850007 0000A504
	v_add_u32_e32 v66, v6, v7                                  // 000000008364: 68840F06
	v_readlane_b32 s82, v3, 18                                 // 000000008368: D2890052 00012503
	s_lshr_b32 s61, s82, 24                                    // 000000008370: 8F3D9852
	s_and_b32 s82, s82, 0xffffff                               // 000000008374: 8652FF52 00FFFFFF
	s_mul_i32 s82, s82, s71                                    // 00000000837C: 92524752
	s_mul_i32 s61, s60, s61                                    // 000000008380: 923D3D3C
	s_add_u32 s82, s82, s61                                    // 000000008384: 80523D52
	v_mul_lo_u32 v6, v5, s82                                   // 000000008388: D2850006 0000A505
	v_readlane_b32 s82, v3, 19                                 // 000000008390: D2890052 00012703
	s_lshr_b32 s61, s82, 24                                    // 000000008398: 8F3D9852
	s_and_b32 s82, s82, 0xffffff                               // 00000000839C: 8652FF52 00FFFFFF
	s_mul_i32 s82, s82, s71                                    // 0000000083A4: 92524752
	s_mul_i32 s61, s60, s61                                    // 0000000083A8: 923D3D3C
	s_add_u32 s82, s82, s61                                    // 0000000083AC: 80523D52
	v_mul_lo_u32 v7, v4, s82                                   // 0000000083B0: D2850007 0000A504
	v_add_u32_e32 v67, v6, v7                                  // 0000000083B8: 68860F06
	v_readlane_b32 s82, v3, 20                                 // 0000000083BC: D2890052 00012903
	s_lshr_b32 s61, s82, 24                                    // 0000000083C4: 8F3D9852
	s_and_b32 s82, s82, 0xffffff                               // 0000000083C8: 8652FF52 00FFFFFF
	s_mul_i32 s82, s82, s71                                    // 0000000083D0: 92524752
	s_mul_i32 s61, s60, s61                                    // 0000000083D4: 923D3D3C
	s_add_u32 s82, s82, s61                                    // 0000000083D8: 80523D52
	v_mul_lo_u32 v6, v5, s82                                   // 0000000083DC: D2850006 0000A505
	v_readlane_b32 s82, v3, 21                                 // 0000000083E4: D2890052 00012B03
	s_lshr_b32 s61, s82, 24                                    // 0000000083EC: 8F3D9852
	s_and_b32 s82, s82, 0xffffff                               // 0000000083F0: 8652FF52 00FFFFFF
	s_mul_i32 s82, s82, s71                                    // 0000000083F8: 92524752
	s_mul_i32 s61, s60, s61                                    // 0000000083FC: 923D3D3C
	s_add_u32 s82, s82, s61                                    // 000000008400: 80523D52
	v_mul_lo_u32 v7, v4, s82                                   // 000000008404: D2850007 0000A504
	v_add_u32_e32 v68, v6, v7                                  // 00000000840C: 68880F06
	v_readlane_b32 s82, v3, 22                                 // 000000008410: D2890052 00012D03
	s_lshr_b32 s61, s82, 24                                    // 000000008418: 8F3D9852
	s_and_b32 s82, s82, 0xffffff                               // 00000000841C: 8652FF52 00FFFFFF
	s_mul_i32 s82, s82, s71                                    // 000000008424: 92524752
	s_mul_i32 s61, s60, s61                                    // 000000008428: 923D3D3C
	s_add_u32 s82, s82, s61                                    // 00000000842C: 80523D52
	v_mul_lo_u32 v6, v5, s82                                   // 000000008430: D2850006 0000A505
	v_readlane_b32 s82, v3, 23                                 // 000000008438: D2890052 00012F03
	s_lshr_b32 s61, s82, 24                                    // 000000008440: 8F3D9852
	s_and_b32 s82, s82, 0xffffff                               // 000000008444: 8652FF52 00FFFFFF
	s_mul_i32 s82, s82, s71                                    // 00000000844C: 92524752
	s_mul_i32 s61, s60, s61                                    // 000000008450: 923D3D3C
	s_add_u32 s82, s82, s61                                    // 000000008454: 80523D52
	v_mul_lo_u32 v7, v4, s82                                   // 000000008458: D2850007 0000A504
	v_add_u32_e32 v69, v6, v7                                  // 000000008460: 688A0F06
	v_readlane_b32 s82, v3, 24                                 // 000000008464: D2890052 00013103
	s_lshr_b32 s61, s82, 24                                    // 00000000846C: 8F3D9852
	s_and_b32 s82, s82, 0xffffff                               // 000000008470: 8652FF52 00FFFFFF
	s_mul_i32 s82, s82, s71                                    // 000000008478: 92524752
	s_mul_i32 s61, s60, s61                                    // 00000000847C: 923D3D3C
	s_add_u32 s82, s82, s61                                    // 000000008480: 80523D52
	v_mul_lo_u32 v6, v5, s82                                   // 000000008484: D2850006 0000A505
	v_readlane_b32 s82, v3, 25                                 // 00000000848C: D2890052 00013303
	s_lshr_b32 s61, s82, 24                                    // 000000008494: 8F3D9852
	s_and_b32 s82, s82, 0xffffff                               // 000000008498: 8652FF52 00FFFFFF
	s_mul_i32 s82, s82, s71                                    // 0000000084A0: 92524752
	s_mul_i32 s61, s60, s61                                    // 0000000084A4: 923D3D3C
	s_add_u32 s82, s82, s61                                    // 0000000084A8: 80523D52
	v_mul_lo_u32 v7, v4, s82                                   // 0000000084AC: D2850007 0000A504
	v_add_u32_e32 v70, v6, v7                                  // 0000000084B4: 688C0F06
	v_readlane_b32 s82, v3, 26                                 // 0000000084B8: D2890052 00013503
	s_lshr_b32 s61, s82, 24                                    // 0000000084C0: 8F3D9852
	s_and_b32 s82, s82, 0xffffff                               // 0000000084C4: 8652FF52 00FFFFFF
	s_mul_i32 s82, s82, s71                                    // 0000000084CC: 92524752
	s_mul_i32 s61, s60, s61                                    // 0000000084D0: 923D3D3C
	s_add_u32 s82, s82, s61                                    // 0000000084D4: 80523D52
	v_mul_lo_u32 v6, v5, s82                                   // 0000000084D8: D2850006 0000A505
	v_readlane_b32 s82, v3, 27                                 // 0000000084E0: D2890052 00013703
	s_lshr_b32 s61, s82, 24                                    // 0000000084E8: 8F3D9852
	s_and_b32 s82, s82, 0xffffff                               // 0000000084EC: 8652FF52 00FFFFFF
	s_mul_i32 s82, s82, s71                                    // 0000000084F4: 92524752
	s_mul_i32 s61, s60, s61                                    // 0000000084F8: 923D3D3C
	s_add_u32 s82, s82, s61                                    // 0000000084FC: 80523D52
	v_mul_lo_u32 v7, v4, s82                                   // 000000008500: D2850007 0000A504
	v_add_u32_e32 v71, v6, v7                                  // 000000008508: 688E0F06
	v_and_b32_e32 v4, 31, v0                                   // 00000000850C: 2608009F
	v_lshrrev_b32_e32 v4, 1, v4                                // 000000008510: 20080881
	s_cmp_eq_u32 s88, 0                                        // 000000008514: BF068058
	s_cselect_b32 s61, 2, 4                                    // 000000008518: 853D8482
	v_mul_lo_u32 v4, v4, s61                                   // 00000000851C: D2850004 00007B04
	v_and_b32_e64 v5, v0, 1                                    // 000000008524: D1130005 00010300
	v_add_u32_e32 v4, v4, v5                                   // 00000000852C: 68080B04
	v_lshlrev_b32_e32 v4, 2, v4                                // 000000008530: 24080882
	v_add_u32_e32 v58, v58, v4                                 // 000000008534: 6874093A
	v_add_u32_e32 v59, v59, v4                                 // 000000008538: 6876093B
	v_add_u32_e32 v60, v60, v4                                 // 00000000853C: 6878093C
	v_add_u32_e32 v61, v61, v4                                 // 000000008540: 687A093D
	v_add_u32_e32 v62, v62, v4                                 // 000000008544: 687C093E
	v_add_u32_e32 v63, v63, v4                                 // 000000008548: 687E093F
	v_add_u32_e32 v64, v64, v4                                 // 00000000854C: 68800940
	v_add_u32_e32 v65, v65, v4                                 // 000000008550: 68820941
	v_add_u32_e32 v66, v66, v4                                 // 000000008554: 68840942
	;; [unrolled: 1-line block ×3, first 2 shown]
	v_add_u32_e32 v68, v68, v4                                 // 00000000855C: 68880944
	v_add_u32_e32 v69, v69, v4                                 // 000000008560: 688A0945
	v_add_u32_e32 v70, v70, v4                                 // 000000008564: 688C0946
	v_add_u32_e32 v71, v71, v4                                 // 000000008568: 688E0947
	s_waitcnt lgkmcnt(0)                                       // 00000000856C: BF8CC07F
	s_barrier                                                  // 000000008570: BF8A0000
	ds_read_b32 v76, v21                                       // 000000008574: D86C0000 4C000015
	ds_read_b32 v77, v21 offset:64                             // 00000000857C: D86C0040 4D000015
	ds_read_b32 v80, v21 offset:2176                           // 000000008584: D86C0880 50000015
	ds_read_b32 v81, v21 offset:2240                           // 00000000858C: D86C08C0 51000015
	ds_read_b32 v84, v21 offset:4352                           // 000000008594: D86C1100 54000015
	ds_read_b32 v85, v21 offset:4416                           // 00000000859C: D86C1140 55000015
	ds_read_b32 v88, v21 offset:6528                           // 0000000085A4: D86C1980 58000015
	ds_read_b32 v89, v21 offset:6592                           // 0000000085AC: D86C19C0 59000015
	ds_read_b32 v92, v21 offset:8704                           // 0000000085B4: D86C2200 5C000015
	ds_read_b32 v93, v21 offset:8768                           // 0000000085BC: D86C2240 5D000015
	ds_read_b32 v96, v21 offset:10880                          // 0000000085C4: D86C2A80 60000015
	ds_read_b32 v97, v21 offset:10944                          // 0000000085CC: D86C2AC0 61000015
	ds_read_b32 v100, v21 offset:13056                         // 0000000085D4: D86C3300 64000015
	ds_read_b32 v101, v21 offset:13120                         // 0000000085DC: D86C3340 65000015
	ds_read_b32 v104, v21 offset:15232                         // 0000000085E4: D86C3B80 68000015
	ds_read_b32 v105, v21 offset:15296                         // 0000000085EC: D86C3BC0 69000015
	ds_read_b32 v108, v21 offset:17408                         // 0000000085F4: D86C4400 6C000015
	ds_read_b32 v109, v21 offset:17472                         // 0000000085FC: D86C4440 6D000015
	ds_read_b32 v112, v21 offset:19584                         // 000000008604: D86C4C80 70000015
	ds_read_b32 v113, v21 offset:19648                         // 00000000860C: D86C4CC0 71000015
	ds_read_b32 v116, v21 offset:21760                         // 000000008614: D86C5500 74000015
	ds_read_b32 v117, v21 offset:21824                         // 00000000861C: D86C5540 75000015
	ds_read_b32 v120, v21 offset:23936                         // 000000008624: D86C5D80 78000015
	ds_read_b32 v121, v21 offset:24000                         // 00000000862C: D86C5DC0 79000015
	ds_read_b32 v124, v21 offset:26112                         // 000000008634: D86C6600 7C000015
	ds_read_b32 v125, v21 offset:26176                         // 00000000863C: D86C6640 7D000015
	ds_read_b32 v128, v21 offset:28288                         // 000000008644: D86C6E80 80000015
	ds_read_b32 v129, v21 offset:28352                         // 00000000864C: D86C6EC0 81000015
	s_waitcnt lgkmcnt(0)                                       // 000000008654: BF8CC07F
	s_mov_b32 s36, -1                                          // 000000008658: BEA400C1
	s_mov_b32 s37, -1                                          // 00000000865C: BEA500C1
	v_mov_b32_e32 v7, 0                                        // 000000008660: 7E0E0280
	s_mov_b64 exec, s[36:37]                                   // 000000008664: BEFE0124
	v_mov_b32_e32 v6, v58                                      // 000000008668: 7E0C033A
	s_mov_b64 s[60:61], 0                                      // 00000000866C: BEBC0180
	v_readlane_b32 s82, v3, 0                                  // 000000008670: D2890052 00010103
	s_and_b32 s82, s82, 0xffffff                               // 000000008678: 8652FF52 00FFFFFF
	s_cmp_lt_u32 s82, s66                                      // 000000008680: BF0A4252
	s_cselect_b32 s20, s36, s60                                // 000000008684: 85143C24
	v_readlane_b32 s82, v3, 1                                  // 000000008688: D2890052 00010303
	s_and_b32 s82, s82, 0xffffff                               // 000000008690: 8652FF52 00FFFFFF
	s_cmp_lt_u32 s82, s66                                      // 000000008698: BF0A4252
	s_cselect_b32 s21, s36, s60                                // 00000000869C: 85153C24
	s_mov_b64 exec, s[20:21]                                   // 0000000086A0: BEFE0114
	global_atomic_add_f32 v6, v76, s[8:9]                      // 0000000086A4: DD348000 00084C06
	global_atomic_add_f32 v6, v80, s[8:9] offset:256           // 0000000086AC: DD348100 00085006
	s_mov_b64 exec, s[36:37]                                   // 0000000086B4: BEFE0124
	v_mov_b32_e32 v6, v59                                      // 0000000086B8: 7E0C033B
	s_mov_b64 s[60:61], 0                                      // 0000000086BC: BEBC0180
	v_readlane_b32 s82, v3, 2                                  // 0000000086C0: D2890052 00010503
	s_and_b32 s82, s82, 0xffffff                               // 0000000086C8: 8652FF52 00FFFFFF
	s_cmp_lt_u32 s82, s66                                      // 0000000086D0: BF0A4252
	s_cselect_b32 s20, s36, s60                                // 0000000086D4: 85143C24
	v_readlane_b32 s82, v3, 3                                  // 0000000086D8: D2890052 00010703
	s_and_b32 s82, s82, 0xffffff                               // 0000000086E0: 8652FF52 00FFFFFF
	s_cmp_lt_u32 s82, s66                                      // 0000000086E8: BF0A4252
	s_cselect_b32 s21, s36, s60                                // 0000000086EC: 85153C24
	s_mov_b64 exec, s[20:21]                                   // 0000000086F0: BEFE0114
	global_atomic_add_f32 v6, v77, s[8:9]                      // 0000000086F4: DD348000 00084D06
	global_atomic_add_f32 v6, v81, s[8:9] offset:256           // 0000000086FC: DD348100 00085106
	s_mov_b64 exec, s[36:37]                                   // 000000008704: BEFE0124
	v_mov_b32_e32 v6, v60                                      // 000000008708: 7E0C033C
	s_mov_b64 s[60:61], 0                                      // 00000000870C: BEBC0180
	v_readlane_b32 s82, v3, 4                                  // 000000008710: D2890052 00010903
	s_and_b32 s82, s82, 0xffffff                               // 000000008718: 8652FF52 00FFFFFF
	s_cmp_lt_u32 s82, s66                                      // 000000008720: BF0A4252
	s_cselect_b32 s20, s36, s60                                // 000000008724: 85143C24
	v_readlane_b32 s82, v3, 5                                  // 000000008728: D2890052 00010B03
	s_and_b32 s82, s82, 0xffffff                               // 000000008730: 8652FF52 00FFFFFF
	s_cmp_lt_u32 s82, s66                                      // 000000008738: BF0A4252
	s_cselect_b32 s21, s36, s60                                // 00000000873C: 85153C24
	s_mov_b64 exec, s[20:21]                                   // 000000008740: BEFE0114
	global_atomic_add_f32 v6, v84, s[8:9]                      // 000000008744: DD348000 00085406
	global_atomic_add_f32 v6, v88, s[8:9] offset:256           // 00000000874C: DD348100 00085806
	s_mov_b64 exec, s[36:37]                                   // 000000008754: BEFE0124
	v_mov_b32_e32 v6, v61                                      // 000000008758: 7E0C033D
	s_mov_b64 s[60:61], 0                                      // 00000000875C: BEBC0180
	v_readlane_b32 s82, v3, 6                                  // 000000008760: D2890052 00010D03
	s_and_b32 s82, s82, 0xffffff                               // 000000008768: 8652FF52 00FFFFFF
	s_cmp_lt_u32 s82, s66                                      // 000000008770: BF0A4252
	s_cselect_b32 s20, s36, s60                                // 000000008774: 85143C24
	v_readlane_b32 s82, v3, 7                                  // 000000008778: D2890052 00010F03
	s_and_b32 s82, s82, 0xffffff                               // 000000008780: 8652FF52 00FFFFFF
	s_cmp_lt_u32 s82, s66                                      // 000000008788: BF0A4252
	s_cselect_b32 s21, s36, s60                                // 00000000878C: 85153C24
	s_mov_b64 exec, s[20:21]                                   // 000000008790: BEFE0114
	global_atomic_add_f32 v6, v85, s[8:9]                      // 000000008794: DD348000 00085506
	global_atomic_add_f32 v6, v89, s[8:9] offset:256           // 00000000879C: DD348100 00085906
	s_mov_b64 exec, s[36:37]                                   // 0000000087A4: BEFE0124
	v_mov_b32_e32 v6, v62                                      // 0000000087A8: 7E0C033E
	s_mov_b64 s[60:61], 0                                      // 0000000087AC: BEBC0180
	v_readlane_b32 s82, v3, 8                                  // 0000000087B0: D2890052 00011103
	s_and_b32 s82, s82, 0xffffff                               // 0000000087B8: 8652FF52 00FFFFFF
	s_cmp_lt_u32 s82, s66                                      // 0000000087C0: BF0A4252
	s_cselect_b32 s20, s36, s60                                // 0000000087C4: 85143C24
	v_readlane_b32 s82, v3, 9                                  // 0000000087C8: D2890052 00011303
	s_and_b32 s82, s82, 0xffffff                               // 0000000087D0: 8652FF52 00FFFFFF
	s_cmp_lt_u32 s82, s66                                      // 0000000087D8: BF0A4252
	s_cselect_b32 s21, s36, s60                                // 0000000087DC: 85153C24
	s_mov_b64 exec, s[20:21]                                   // 0000000087E0: BEFE0114
	global_atomic_add_f32 v6, v92, s[8:9]                      // 0000000087E4: DD348000 00085C06
	global_atomic_add_f32 v6, v96, s[8:9] offset:256           // 0000000087EC: DD348100 00086006
	s_mov_b64 exec, s[36:37]                                   // 0000000087F4: BEFE0124
	v_mov_b32_e32 v6, v63                                      // 0000000087F8: 7E0C033F
	s_mov_b64 s[60:61], 0                                      // 0000000087FC: BEBC0180
	v_readlane_b32 s82, v3, 10                                 // 000000008800: D2890052 00011503
	s_and_b32 s82, s82, 0xffffff                               // 000000008808: 8652FF52 00FFFFFF
	s_cmp_lt_u32 s82, s66                                      // 000000008810: BF0A4252
	s_cselect_b32 s20, s36, s60                                // 000000008814: 85143C24
	v_readlane_b32 s82, v3, 11                                 // 000000008818: D2890052 00011703
	s_and_b32 s82, s82, 0xffffff                               // 000000008820: 8652FF52 00FFFFFF
	s_cmp_lt_u32 s82, s66                                      // 000000008828: BF0A4252
	s_cselect_b32 s21, s36, s60                                // 00000000882C: 85153C24
	s_mov_b64 exec, s[20:21]                                   // 000000008830: BEFE0114
	global_atomic_add_f32 v6, v93, s[8:9]                      // 000000008834: DD348000 00085D06
	global_atomic_add_f32 v6, v97, s[8:9] offset:256           // 00000000883C: DD348100 00086106
	s_mov_b64 exec, s[36:37]                                   // 000000008844: BEFE0124
	v_mov_b32_e32 v6, v64                                      // 000000008848: 7E0C0340
	s_mov_b64 s[60:61], 0                                      // 00000000884C: BEBC0180
	v_readlane_b32 s82, v3, 12                                 // 000000008850: D2890052 00011903
	s_and_b32 s82, s82, 0xffffff                               // 000000008858: 8652FF52 00FFFFFF
	s_cmp_lt_u32 s82, s66                                      // 000000008860: BF0A4252
	s_cselect_b32 s20, s36, s60                                // 000000008864: 85143C24
	v_readlane_b32 s82, v3, 13                                 // 000000008868: D2890052 00011B03
	s_and_b32 s82, s82, 0xffffff                               // 000000008870: 8652FF52 00FFFFFF
	s_cmp_lt_u32 s82, s66                                      // 000000008878: BF0A4252
	s_cselect_b32 s21, s36, s60                                // 00000000887C: 85153C24
	s_mov_b64 exec, s[20:21]                                   // 000000008880: BEFE0114
	global_atomic_add_f32 v6, v100, s[8:9]                     // 000000008884: DD348000 00086406
	global_atomic_add_f32 v6, v104, s[8:9] offset:256          // 00000000888C: DD348100 00086806
	s_mov_b64 exec, s[36:37]                                   // 000000008894: BEFE0124
	v_mov_b32_e32 v6, v65                                      // 000000008898: 7E0C0341
	s_mov_b64 s[60:61], 0                                      // 00000000889C: BEBC0180
	v_readlane_b32 s82, v3, 14                                 // 0000000088A0: D2890052 00011D03
	s_and_b32 s82, s82, 0xffffff                               // 0000000088A8: 8652FF52 00FFFFFF
	s_cmp_lt_u32 s82, s66                                      // 0000000088B0: BF0A4252
	s_cselect_b32 s20, s36, s60                                // 0000000088B4: 85143C24
	v_readlane_b32 s82, v3, 15                                 // 0000000088B8: D2890052 00011F03
	s_and_b32 s82, s82, 0xffffff                               // 0000000088C0: 8652FF52 00FFFFFF
	s_cmp_lt_u32 s82, s66                                      // 0000000088C8: BF0A4252
	s_cselect_b32 s21, s36, s60                                // 0000000088CC: 85153C24
	s_mov_b64 exec, s[20:21]                                   // 0000000088D0: BEFE0114
	global_atomic_add_f32 v6, v101, s[8:9]                     // 0000000088D4: DD348000 00086506
	global_atomic_add_f32 v6, v105, s[8:9] offset:256          // 0000000088DC: DD348100 00086906
	s_mov_b64 exec, s[36:37]                                   // 0000000088E4: BEFE0124
	v_mov_b32_e32 v6, v66                                      // 0000000088E8: 7E0C0342
	s_mov_b64 s[60:61], 0                                      // 0000000088EC: BEBC0180
	v_readlane_b32 s82, v3, 16                                 // 0000000088F0: D2890052 00012103
	s_and_b32 s82, s82, 0xffffff                               // 0000000088F8: 8652FF52 00FFFFFF
	s_cmp_lt_u32 s82, s66                                      // 000000008900: BF0A4252
	s_cselect_b32 s20, s36, s60                                // 000000008904: 85143C24
	v_readlane_b32 s82, v3, 17                                 // 000000008908: D2890052 00012303
	s_and_b32 s82, s82, 0xffffff                               // 000000008910: 8652FF52 00FFFFFF
	s_cmp_lt_u32 s82, s66                                      // 000000008918: BF0A4252
	s_cselect_b32 s21, s36, s60                                // 00000000891C: 85153C24
	s_mov_b64 exec, s[20:21]                                   // 000000008920: BEFE0114
	global_atomic_add_f32 v6, v108, s[8:9]                     // 000000008924: DD348000 00086C06
	global_atomic_add_f32 v6, v112, s[8:9] offset:256          // 00000000892C: DD348100 00087006
	s_mov_b64 exec, s[36:37]                                   // 000000008934: BEFE0124
	v_mov_b32_e32 v6, v67                                      // 000000008938: 7E0C0343
	s_mov_b64 s[60:61], 0                                      // 00000000893C: BEBC0180
	v_readlane_b32 s82, v3, 18                                 // 000000008940: D2890052 00012503
	s_and_b32 s82, s82, 0xffffff                               // 000000008948: 8652FF52 00FFFFFF
	s_cmp_lt_u32 s82, s66                                      // 000000008950: BF0A4252
	s_cselect_b32 s20, s36, s60                                // 000000008954: 85143C24
	v_readlane_b32 s82, v3, 19                                 // 000000008958: D2890052 00012703
	s_and_b32 s82, s82, 0xffffff                               // 000000008960: 8652FF52 00FFFFFF
	s_cmp_lt_u32 s82, s66                                      // 000000008968: BF0A4252
	s_cselect_b32 s21, s36, s60                                // 00000000896C: 85153C24
	s_mov_b64 exec, s[20:21]                                   // 000000008970: BEFE0114
	global_atomic_add_f32 v6, v109, s[8:9]                     // 000000008974: DD348000 00086D06
	global_atomic_add_f32 v6, v113, s[8:9] offset:256          // 00000000897C: DD348100 00087106
	s_mov_b64 exec, s[36:37]                                   // 000000008984: BEFE0124
	v_mov_b32_e32 v6, v68                                      // 000000008988: 7E0C0344
	s_mov_b64 s[60:61], 0                                      // 00000000898C: BEBC0180
	v_readlane_b32 s82, v3, 20                                 // 000000008990: D2890052 00012903
	s_and_b32 s82, s82, 0xffffff                               // 000000008998: 8652FF52 00FFFFFF
	s_cmp_lt_u32 s82, s66                                      // 0000000089A0: BF0A4252
	s_cselect_b32 s20, s36, s60                                // 0000000089A4: 85143C24
	v_readlane_b32 s82, v3, 21                                 // 0000000089A8: D2890052 00012B03
	s_and_b32 s82, s82, 0xffffff                               // 0000000089B0: 8652FF52 00FFFFFF
	s_cmp_lt_u32 s82, s66                                      // 0000000089B8: BF0A4252
	s_cselect_b32 s21, s36, s60                                // 0000000089BC: 85153C24
	s_mov_b64 exec, s[20:21]                                   // 0000000089C0: BEFE0114
	global_atomic_add_f32 v6, v116, s[8:9]                     // 0000000089C4: DD348000 00087406
	global_atomic_add_f32 v6, v120, s[8:9] offset:256          // 0000000089CC: DD348100 00087806
	s_mov_b64 exec, s[36:37]                                   // 0000000089D4: BEFE0124
	v_mov_b32_e32 v6, v69                                      // 0000000089D8: 7E0C0345
	s_mov_b64 s[60:61], 0                                      // 0000000089DC: BEBC0180
	v_readlane_b32 s82, v3, 22                                 // 0000000089E0: D2890052 00012D03
	s_and_b32 s82, s82, 0xffffff                               // 0000000089E8: 8652FF52 00FFFFFF
	s_cmp_lt_u32 s82, s66                                      // 0000000089F0: BF0A4252
	s_cselect_b32 s20, s36, s60                                // 0000000089F4: 85143C24
	v_readlane_b32 s82, v3, 23                                 // 0000000089F8: D2890052 00012F03
	s_and_b32 s82, s82, 0xffffff                               // 000000008A00: 8652FF52 00FFFFFF
	s_cmp_lt_u32 s82, s66                                      // 000000008A08: BF0A4252
	s_cselect_b32 s21, s36, s60                                // 000000008A0C: 85153C24
	s_mov_b64 exec, s[20:21]                                   // 000000008A10: BEFE0114
	global_atomic_add_f32 v6, v117, s[8:9]                     // 000000008A14: DD348000 00087506
	global_atomic_add_f32 v6, v121, s[8:9] offset:256          // 000000008A1C: DD348100 00087906
	s_mov_b64 exec, s[36:37]                                   // 000000008A24: BEFE0124
	v_mov_b32_e32 v6, v70                                      // 000000008A28: 7E0C0346
	s_mov_b64 s[60:61], 0                                      // 000000008A2C: BEBC0180
	v_readlane_b32 s82, v3, 24                                 // 000000008A30: D2890052 00013103
	s_and_b32 s82, s82, 0xffffff                               // 000000008A38: 8652FF52 00FFFFFF
	s_cmp_lt_u32 s82, s66                                      // 000000008A40: BF0A4252
	s_cselect_b32 s20, s36, s60                                // 000000008A44: 85143C24
	v_readlane_b32 s82, v3, 25                                 // 000000008A48: D2890052 00013303
	s_and_b32 s82, s82, 0xffffff                               // 000000008A50: 8652FF52 00FFFFFF
	s_cmp_lt_u32 s82, s66                                      // 000000008A58: BF0A4252
	s_cselect_b32 s21, s36, s60                                // 000000008A5C: 85153C24
	s_mov_b64 exec, s[20:21]                                   // 000000008A60: BEFE0114
	global_atomic_add_f32 v6, v124, s[8:9]                     // 000000008A64: DD348000 00087C06
	global_atomic_add_f32 v6, v128, s[8:9] offset:256          // 000000008A6C: DD348100 00088006
	s_mov_b64 exec, s[36:37]                                   // 000000008A74: BEFE0124
	v_mov_b32_e32 v6, v71                                      // 000000008A78: 7E0C0347
	s_mov_b64 s[60:61], 0                                      // 000000008A7C: BEBC0180
	v_readlane_b32 s82, v3, 26                                 // 000000008A80: D2890052 00013503
	s_and_b32 s82, s82, 0xffffff                               // 000000008A88: 8652FF52 00FFFFFF
	s_cmp_lt_u32 s82, s66                                      // 000000008A90: BF0A4252
	s_cselect_b32 s20, s36, s60                                // 000000008A94: 85143C24
	v_readlane_b32 s82, v3, 27                                 // 000000008A98: D2890052 00013703
	s_and_b32 s82, s82, 0xffffff                               // 000000008AA0: 8652FF52 00FFFFFF
	s_cmp_lt_u32 s82, s66                                      // 000000008AA8: BF0A4252
	s_cselect_b32 s21, s36, s60                                // 000000008AAC: 85153C24
	s_mov_b64 exec, s[20:21]                                   // 000000008AB0: BEFE0114
	global_atomic_add_f32 v6, v125, s[8:9]                     // 000000008AB4: DD348000 00087D06
	global_atomic_add_f32 v6, v129, s[8:9] offset:256          // 000000008ABC: DD348100 00088106
	s_mov_b64 exec, s[36:37]                                   // 000000008AC4: BEFE0124
	ds_write_b64 v20, v[78:79]                                 // 000000008AC8: D89A0000 00004E14
	ds_write_b64 v20, v[82:83] offset:4352                     // 000000008AD0: D89A1100 00005214
	ds_write_b64 v20, v[86:87] offset:8704                     // 000000008AD8: D89A2200 00005614
	ds_write_b64 v20, v[90:91] offset:13056                    // 000000008AE0: D89A3300 00005A14
	ds_write_b64 v20, v[94:95] offset:17408                    // 000000008AE8: D89A4400 00005E14
	ds_write_b64 v20, v[98:99] offset:21760                    // 000000008AF0: D89A5500 00006214
	ds_write_b64 v20, v[102:103] offset:26112                  // 000000008AF8: D89A6600 00006614
	ds_write_b64 v20, v[106:107] offset:2176                   // 000000008B00: D89A0880 00006A14
	ds_write_b64 v20, v[110:111] offset:6528                   // 000000008B08: D89A1980 00006E14
	ds_write_b64 v20, v[114:115] offset:10880                  // 000000008B10: D89A2A80 00007214
	ds_write_b64 v20, v[118:119] offset:15232                  // 000000008B18: D89A3B80 00007614
	ds_write_b64 v20, v[122:123] offset:19584                  // 000000008B20: D89A4C80 00007A14
	ds_write_b64 v20, v[126:127] offset:23936                  // 000000008B28: D89A5D80 00007E14
	ds_write_b64 v20, v[130:131] offset:28288                  // 000000008B30: D89A6E80 00008214
	s_waitcnt lgkmcnt(0)                                       // 000000008B38: BF8CC07F
	s_barrier                                                  // 000000008B3C: BF8A0000
	ds_read_b32 v78, v21                                       // 000000008B40: D86C0000 4E000015
	ds_read_b32 v79, v21 offset:64                             // 000000008B48: D86C0040 4F000015
	ds_read_b32 v82, v21 offset:2176                           // 000000008B50: D86C0880 52000015
	ds_read_b32 v83, v21 offset:2240                           // 000000008B58: D86C08C0 53000015
	ds_read_b32 v86, v21 offset:4352                           // 000000008B60: D86C1100 56000015
	ds_read_b32 v87, v21 offset:4416                           // 000000008B68: D86C1140 57000015
	ds_read_b32 v90, v21 offset:6528                           // 000000008B70: D86C1980 5A000015
	ds_read_b32 v91, v21 offset:6592                           // 000000008B78: D86C19C0 5B000015
	ds_read_b32 v94, v21 offset:8704                           // 000000008B80: D86C2200 5E000015
	ds_read_b32 v95, v21 offset:8768                           // 000000008B88: D86C2240 5F000015
	ds_read_b32 v98, v21 offset:10880                          // 000000008B90: D86C2A80 62000015
	ds_read_b32 v99, v21 offset:10944                          // 000000008B98: D86C2AC0 63000015
	ds_read_b32 v102, v21 offset:13056                         // 000000008BA0: D86C3300 66000015
	ds_read_b32 v103, v21 offset:13120                         // 000000008BA8: D86C3340 67000015
	ds_read_b32 v106, v21 offset:15232                         // 000000008BB0: D86C3B80 6A000015
	ds_read_b32 v107, v21 offset:15296                         // 000000008BB8: D86C3BC0 6B000015
	ds_read_b32 v110, v21 offset:17408                         // 000000008BC0: D86C4400 6E000015
	ds_read_b32 v111, v21 offset:17472                         // 000000008BC8: D86C4440 6F000015
	ds_read_b32 v114, v21 offset:19584                         // 000000008BD0: D86C4C80 72000015
	ds_read_b32 v115, v21 offset:19648                         // 000000008BD8: D86C4CC0 73000015
	ds_read_b32 v118, v21 offset:21760                         // 000000008BE0: D86C5500 76000015
	ds_read_b32 v119, v21 offset:21824                         // 000000008BE8: D86C5540 77000015
	ds_read_b32 v122, v21 offset:23936                         // 000000008BF0: D86C5D80 7A000015
	ds_read_b32 v123, v21 offset:24000                         // 000000008BF8: D86C5DC0 7B000015
	ds_read_b32 v126, v21 offset:26112                         // 000000008C00: D86C6600 7E000015
	ds_read_b32 v127, v21 offset:26176                         // 000000008C08: D86C6640 7F000015
	ds_read_b32 v130, v21 offset:28288                         // 000000008C10: D86C6E80 82000015
	ds_read_b32 v131, v21 offset:28352                         // 000000008C18: D86C6EC0 83000015
	s_waitcnt lgkmcnt(0)                                       // 000000008C20: BF8CC07F
	v_mov_b32_e32 v7, 0                                        // 000000008C24: 7E0E0280
	s_mov_b64 exec, s[36:37]                                   // 000000008C28: BEFE0124
	v_mov_b32_e32 v6, v58                                      // 000000008C2C: 7E0C033A
	s_mov_b64 s[60:61], 0                                      // 000000008C30: BEBC0180
	v_readlane_b32 s82, v3, 0                                  // 000000008C34: D2890052 00010103
	s_and_b32 s82, s82, 0xffffff                               // 000000008C3C: 8652FF52 00FFFFFF
	s_cmp_lt_u32 s82, s66                                      // 000000008C44: BF0A4252
	s_cselect_b32 s20, s36, s60                                // 000000008C48: 85143C24
	v_readlane_b32 s82, v3, 1                                  // 000000008C4C: D2890052 00010303
	s_and_b32 s82, s82, 0xffffff                               // 000000008C54: 8652FF52 00FFFFFF
	s_cmp_lt_u32 s82, s66                                      // 000000008C5C: BF0A4252
	s_cselect_b32 s21, s36, s60                                // 000000008C60: 85153C24
	s_mov_b64 exec, s[20:21]                                   // 000000008C64: BEFE0114
	global_atomic_add_f32 v6, v78, s[8:9] offset:8             // 000000008C68: DD348008 00084E06
	global_atomic_add_f32 v6, v82, s[8:9] offset:264           // 000000008C70: DD348108 00085206
	s_mov_b64 exec, s[36:37]                                   // 000000008C78: BEFE0124
	v_mov_b32_e32 v6, v59                                      // 000000008C7C: 7E0C033B
	s_mov_b64 s[60:61], 0                                      // 000000008C80: BEBC0180
	v_readlane_b32 s82, v3, 2                                  // 000000008C84: D2890052 00010503
	s_and_b32 s82, s82, 0xffffff                               // 000000008C8C: 8652FF52 00FFFFFF
	s_cmp_lt_u32 s82, s66                                      // 000000008C94: BF0A4252
	s_cselect_b32 s20, s36, s60                                // 000000008C98: 85143C24
	v_readlane_b32 s82, v3, 3                                  // 000000008C9C: D2890052 00010703
	s_and_b32 s82, s82, 0xffffff                               // 000000008CA4: 8652FF52 00FFFFFF
	s_cmp_lt_u32 s82, s66                                      // 000000008CAC: BF0A4252
	s_cselect_b32 s21, s36, s60                                // 000000008CB0: 85153C24
	s_mov_b64 exec, s[20:21]                                   // 000000008CB4: BEFE0114
	global_atomic_add_f32 v6, v79, s[8:9] offset:8             // 000000008CB8: DD348008 00084F06
	global_atomic_add_f32 v6, v83, s[8:9] offset:264           // 000000008CC0: DD348108 00085306
	s_mov_b64 exec, s[36:37]                                   // 000000008CC8: BEFE0124
	v_mov_b32_e32 v6, v60                                      // 000000008CCC: 7E0C033C
	s_mov_b64 s[60:61], 0                                      // 000000008CD0: BEBC0180
	v_readlane_b32 s82, v3, 4                                  // 000000008CD4: D2890052 00010903
	s_and_b32 s82, s82, 0xffffff                               // 000000008CDC: 8652FF52 00FFFFFF
	s_cmp_lt_u32 s82, s66                                      // 000000008CE4: BF0A4252
	s_cselect_b32 s20, s36, s60                                // 000000008CE8: 85143C24
	v_readlane_b32 s82, v3, 5                                  // 000000008CEC: D2890052 00010B03
	s_and_b32 s82, s82, 0xffffff                               // 000000008CF4: 8652FF52 00FFFFFF
	s_cmp_lt_u32 s82, s66                                      // 000000008CFC: BF0A4252
	s_cselect_b32 s21, s36, s60                                // 000000008D00: 85153C24
	s_mov_b64 exec, s[20:21]                                   // 000000008D04: BEFE0114
	global_atomic_add_f32 v6, v86, s[8:9] offset:8             // 000000008D08: DD348008 00085606
	global_atomic_add_f32 v6, v90, s[8:9] offset:264           // 000000008D10: DD348108 00085A06
	s_mov_b64 exec, s[36:37]                                   // 000000008D18: BEFE0124
	v_mov_b32_e32 v6, v61                                      // 000000008D1C: 7E0C033D
	s_mov_b64 s[60:61], 0                                      // 000000008D20: BEBC0180
	v_readlane_b32 s82, v3, 6                                  // 000000008D24: D2890052 00010D03
	s_and_b32 s82, s82, 0xffffff                               // 000000008D2C: 8652FF52 00FFFFFF
	s_cmp_lt_u32 s82, s66                                      // 000000008D34: BF0A4252
	s_cselect_b32 s20, s36, s60                                // 000000008D38: 85143C24
	v_readlane_b32 s82, v3, 7                                  // 000000008D3C: D2890052 00010F03
	s_and_b32 s82, s82, 0xffffff                               // 000000008D44: 8652FF52 00FFFFFF
	s_cmp_lt_u32 s82, s66                                      // 000000008D4C: BF0A4252
	s_cselect_b32 s21, s36, s60                                // 000000008D50: 85153C24
	s_mov_b64 exec, s[20:21]                                   // 000000008D54: BEFE0114
	global_atomic_add_f32 v6, v87, s[8:9] offset:8             // 000000008D58: DD348008 00085706
	global_atomic_add_f32 v6, v91, s[8:9] offset:264           // 000000008D60: DD348108 00085B06
	s_mov_b64 exec, s[36:37]                                   // 000000008D68: BEFE0124
	v_mov_b32_e32 v6, v62                                      // 000000008D6C: 7E0C033E
	s_mov_b64 s[60:61], 0                                      // 000000008D70: BEBC0180
	v_readlane_b32 s82, v3, 8                                  // 000000008D74: D2890052 00011103
	s_and_b32 s82, s82, 0xffffff                               // 000000008D7C: 8652FF52 00FFFFFF
	s_cmp_lt_u32 s82, s66                                      // 000000008D84: BF0A4252
	s_cselect_b32 s20, s36, s60                                // 000000008D88: 85143C24
	v_readlane_b32 s82, v3, 9                                  // 000000008D8C: D2890052 00011303
	s_and_b32 s82, s82, 0xffffff                               // 000000008D94: 8652FF52 00FFFFFF
	s_cmp_lt_u32 s82, s66                                      // 000000008D9C: BF0A4252
	s_cselect_b32 s21, s36, s60                                // 000000008DA0: 85153C24
	s_mov_b64 exec, s[20:21]                                   // 000000008DA4: BEFE0114
	global_atomic_add_f32 v6, v94, s[8:9] offset:8             // 000000008DA8: DD348008 00085E06
	global_atomic_add_f32 v6, v98, s[8:9] offset:264           // 000000008DB0: DD348108 00086206
	s_mov_b64 exec, s[36:37]                                   // 000000008DB8: BEFE0124
	v_mov_b32_e32 v6, v63                                      // 000000008DBC: 7E0C033F
	s_mov_b64 s[60:61], 0                                      // 000000008DC0: BEBC0180
	v_readlane_b32 s82, v3, 10                                 // 000000008DC4: D2890052 00011503
	s_and_b32 s82, s82, 0xffffff                               // 000000008DCC: 8652FF52 00FFFFFF
	s_cmp_lt_u32 s82, s66                                      // 000000008DD4: BF0A4252
	s_cselect_b32 s20, s36, s60                                // 000000008DD8: 85143C24
	v_readlane_b32 s82, v3, 11                                 // 000000008DDC: D2890052 00011703
	s_and_b32 s82, s82, 0xffffff                               // 000000008DE4: 8652FF52 00FFFFFF
	s_cmp_lt_u32 s82, s66                                      // 000000008DEC: BF0A4252
	s_cselect_b32 s21, s36, s60                                // 000000008DF0: 85153C24
	s_mov_b64 exec, s[20:21]                                   // 000000008DF4: BEFE0114
	global_atomic_add_f32 v6, v95, s[8:9] offset:8             // 000000008DF8: DD348008 00085F06
	global_atomic_add_f32 v6, v99, s[8:9] offset:264           // 000000008E00: DD348108 00086306
	s_mov_b64 exec, s[36:37]                                   // 000000008E08: BEFE0124
	v_mov_b32_e32 v6, v64                                      // 000000008E0C: 7E0C0340
	s_mov_b64 s[60:61], 0                                      // 000000008E10: BEBC0180
	v_readlane_b32 s82, v3, 12                                 // 000000008E14: D2890052 00011903
	s_and_b32 s82, s82, 0xffffff                               // 000000008E1C: 8652FF52 00FFFFFF
	s_cmp_lt_u32 s82, s66                                      // 000000008E24: BF0A4252
	s_cselect_b32 s20, s36, s60                                // 000000008E28: 85143C24
	v_readlane_b32 s82, v3, 13                                 // 000000008E2C: D2890052 00011B03
	s_and_b32 s82, s82, 0xffffff                               // 000000008E34: 8652FF52 00FFFFFF
	s_cmp_lt_u32 s82, s66                                      // 000000008E3C: BF0A4252
	s_cselect_b32 s21, s36, s60                                // 000000008E40: 85153C24
	s_mov_b64 exec, s[20:21]                                   // 000000008E44: BEFE0114
	global_atomic_add_f32 v6, v102, s[8:9] offset:8            // 000000008E48: DD348008 00086606
	global_atomic_add_f32 v6, v106, s[8:9] offset:264          // 000000008E50: DD348108 00086A06
	s_mov_b64 exec, s[36:37]                                   // 000000008E58: BEFE0124
	v_mov_b32_e32 v6, v65                                      // 000000008E5C: 7E0C0341
	s_mov_b64 s[60:61], 0                                      // 000000008E60: BEBC0180
	v_readlane_b32 s82, v3, 14                                 // 000000008E64: D2890052 00011D03
	s_and_b32 s82, s82, 0xffffff                               // 000000008E6C: 8652FF52 00FFFFFF
	s_cmp_lt_u32 s82, s66                                      // 000000008E74: BF0A4252
	s_cselect_b32 s20, s36, s60                                // 000000008E78: 85143C24
	v_readlane_b32 s82, v3, 15                                 // 000000008E7C: D2890052 00011F03
	s_and_b32 s82, s82, 0xffffff                               // 000000008E84: 8652FF52 00FFFFFF
	s_cmp_lt_u32 s82, s66                                      // 000000008E8C: BF0A4252
	s_cselect_b32 s21, s36, s60                                // 000000008E90: 85153C24
	s_mov_b64 exec, s[20:21]                                   // 000000008E94: BEFE0114
	global_atomic_add_f32 v6, v103, s[8:9] offset:8            // 000000008E98: DD348008 00086706
	global_atomic_add_f32 v6, v107, s[8:9] offset:264          // 000000008EA0: DD348108 00086B06
	s_mov_b64 exec, s[36:37]                                   // 000000008EA8: BEFE0124
	v_mov_b32_e32 v6, v66                                      // 000000008EAC: 7E0C0342
	s_mov_b64 s[60:61], 0                                      // 000000008EB0: BEBC0180
	v_readlane_b32 s82, v3, 16                                 // 000000008EB4: D2890052 00012103
	s_and_b32 s82, s82, 0xffffff                               // 000000008EBC: 8652FF52 00FFFFFF
	s_cmp_lt_u32 s82, s66                                      // 000000008EC4: BF0A4252
	s_cselect_b32 s20, s36, s60                                // 000000008EC8: 85143C24
	v_readlane_b32 s82, v3, 17                                 // 000000008ECC: D2890052 00012303
	s_and_b32 s82, s82, 0xffffff                               // 000000008ED4: 8652FF52 00FFFFFF
	s_cmp_lt_u32 s82, s66                                      // 000000008EDC: BF0A4252
	s_cselect_b32 s21, s36, s60                                // 000000008EE0: 85153C24
	s_mov_b64 exec, s[20:21]                                   // 000000008EE4: BEFE0114
	global_atomic_add_f32 v6, v110, s[8:9] offset:8            // 000000008EE8: DD348008 00086E06
	global_atomic_add_f32 v6, v114, s[8:9] offset:264          // 000000008EF0: DD348108 00087206
	s_mov_b64 exec, s[36:37]                                   // 000000008EF8: BEFE0124
	v_mov_b32_e32 v6, v67                                      // 000000008EFC: 7E0C0343
	s_mov_b64 s[60:61], 0                                      // 000000008F00: BEBC0180
	v_readlane_b32 s82, v3, 18                                 // 000000008F04: D2890052 00012503
	s_and_b32 s82, s82, 0xffffff                               // 000000008F0C: 8652FF52 00FFFFFF
	s_cmp_lt_u32 s82, s66                                      // 000000008F14: BF0A4252
	s_cselect_b32 s20, s36, s60                                // 000000008F18: 85143C24
	v_readlane_b32 s82, v3, 19                                 // 000000008F1C: D2890052 00012703
	s_and_b32 s82, s82, 0xffffff                               // 000000008F24: 8652FF52 00FFFFFF
	s_cmp_lt_u32 s82, s66                                      // 000000008F2C: BF0A4252
	s_cselect_b32 s21, s36, s60                                // 000000008F30: 85153C24
	s_mov_b64 exec, s[20:21]                                   // 000000008F34: BEFE0114
	global_atomic_add_f32 v6, v111, s[8:9] offset:8            // 000000008F38: DD348008 00086F06
	global_atomic_add_f32 v6, v115, s[8:9] offset:264          // 000000008F40: DD348108 00087306
	s_mov_b64 exec, s[36:37]                                   // 000000008F48: BEFE0124
	v_mov_b32_e32 v6, v68                                      // 000000008F4C: 7E0C0344
	s_mov_b64 s[60:61], 0                                      // 000000008F50: BEBC0180
	v_readlane_b32 s82, v3, 20                                 // 000000008F54: D2890052 00012903
	s_and_b32 s82, s82, 0xffffff                               // 000000008F5C: 8652FF52 00FFFFFF
	s_cmp_lt_u32 s82, s66                                      // 000000008F64: BF0A4252
	s_cselect_b32 s20, s36, s60                                // 000000008F68: 85143C24
	v_readlane_b32 s82, v3, 21                                 // 000000008F6C: D2890052 00012B03
	s_and_b32 s82, s82, 0xffffff                               // 000000008F74: 8652FF52 00FFFFFF
	s_cmp_lt_u32 s82, s66                                      // 000000008F7C: BF0A4252
	s_cselect_b32 s21, s36, s60                                // 000000008F80: 85153C24
	s_mov_b64 exec, s[20:21]                                   // 000000008F84: BEFE0114
	global_atomic_add_f32 v6, v118, s[8:9] offset:8            // 000000008F88: DD348008 00087606
	global_atomic_add_f32 v6, v122, s[8:9] offset:264          // 000000008F90: DD348108 00087A06
	s_mov_b64 exec, s[36:37]                                   // 000000008F98: BEFE0124
	v_mov_b32_e32 v6, v69                                      // 000000008F9C: 7E0C0345
	s_mov_b64 s[60:61], 0                                      // 000000008FA0: BEBC0180
	v_readlane_b32 s82, v3, 22                                 // 000000008FA4: D2890052 00012D03
	s_and_b32 s82, s82, 0xffffff                               // 000000008FAC: 8652FF52 00FFFFFF
	s_cmp_lt_u32 s82, s66                                      // 000000008FB4: BF0A4252
	s_cselect_b32 s20, s36, s60                                // 000000008FB8: 85143C24
	v_readlane_b32 s82, v3, 23                                 // 000000008FBC: D2890052 00012F03
	s_and_b32 s82, s82, 0xffffff                               // 000000008FC4: 8652FF52 00FFFFFF
	s_cmp_lt_u32 s82, s66                                      // 000000008FCC: BF0A4252
	s_cselect_b32 s21, s36, s60                                // 000000008FD0: 85153C24
	s_mov_b64 exec, s[20:21]                                   // 000000008FD4: BEFE0114
	global_atomic_add_f32 v6, v119, s[8:9] offset:8            // 000000008FD8: DD348008 00087706
	global_atomic_add_f32 v6, v123, s[8:9] offset:264          // 000000008FE0: DD348108 00087B06
	s_mov_b64 exec, s[36:37]                                   // 000000008FE8: BEFE0124
	v_mov_b32_e32 v6, v70                                      // 000000008FEC: 7E0C0346
	s_mov_b64 s[60:61], 0                                      // 000000008FF0: BEBC0180
	v_readlane_b32 s82, v3, 24                                 // 000000008FF4: D2890052 00013103
	s_and_b32 s82, s82, 0xffffff                               // 000000008FFC: 8652FF52 00FFFFFF
	s_cmp_lt_u32 s82, s66                                      // 000000009004: BF0A4252
	s_cselect_b32 s20, s36, s60                                // 000000009008: 85143C24
	v_readlane_b32 s82, v3, 25                                 // 00000000900C: D2890052 00013303
	s_and_b32 s82, s82, 0xffffff                               // 000000009014: 8652FF52 00FFFFFF
	s_cmp_lt_u32 s82, s66                                      // 00000000901C: BF0A4252
	s_cselect_b32 s21, s36, s60                                // 000000009020: 85153C24
	s_mov_b64 exec, s[20:21]                                   // 000000009024: BEFE0114
	global_atomic_add_f32 v6, v126, s[8:9] offset:8            // 000000009028: DD348008 00087E06
	global_atomic_add_f32 v6, v130, s[8:9] offset:264          // 000000009030: DD348108 00088206
	s_mov_b64 exec, s[36:37]                                   // 000000009038: BEFE0124
	v_mov_b32_e32 v6, v71                                      // 00000000903C: 7E0C0347
	s_mov_b64 s[60:61], 0                                      // 000000009040: BEBC0180
	v_readlane_b32 s82, v3, 26                                 // 000000009044: D2890052 00013503
	s_and_b32 s82, s82, 0xffffff                               // 00000000904C: 8652FF52 00FFFFFF
	s_cmp_lt_u32 s82, s66                                      // 000000009054: BF0A4252
	s_cselect_b32 s20, s36, s60                                // 000000009058: 85143C24
	v_readlane_b32 s82, v3, 27                                 // 00000000905C: D2890052 00013703
	s_and_b32 s82, s82, 0xffffff                               // 000000009064: 8652FF52 00FFFFFF
	s_cmp_lt_u32 s82, s66                                      // 00000000906C: BF0A4252
	s_cselect_b32 s21, s36, s60                                // 000000009070: 85153C24
	s_mov_b64 exec, s[20:21]                                   // 000000009074: BEFE0114
	global_atomic_add_f32 v6, v127, s[8:9] offset:8            // 000000009078: DD348008 00087F06
	global_atomic_add_f32 v6, v131, s[8:9] offset:264          // 000000009080: DD348108 00088306
	s_mov_b64 exec, s[36:37]                                   // 000000009088: BEFE0124
	ds_write_b64 v20, v[132:133]                               // 00000000908C: D89A0000 00008414
	ds_write_b64 v20, v[136:137] offset:4352                   // 000000009094: D89A1100 00008814
	ds_write_b64 v20, v[140:141] offset:8704                   // 00000000909C: D89A2200 00008C14
	ds_write_b64 v20, v[144:145] offset:13056                  // 0000000090A4: D89A3300 00009014
	ds_write_b64 v20, v[148:149] offset:17408                  // 0000000090AC: D89A4400 00009414
	ds_write_b64 v20, v[152:153] offset:21760                  // 0000000090B4: D89A5500 00009814
	ds_write_b64 v20, v[156:157] offset:26112                  // 0000000090BC: D89A6600 00009C14
	ds_write_b64 v20, v[160:161] offset:2176                   // 0000000090C4: D89A0880 0000A014
	ds_write_b64 v20, v[164:165] offset:6528                   // 0000000090CC: D89A1980 0000A414
	ds_write_b64 v20, v[168:169] offset:10880                  // 0000000090D4: D89A2A80 0000A814
	ds_write_b64 v20, v[172:173] offset:15232                  // 0000000090DC: D89A3B80 0000AC14
	ds_write_b64 v20, v[176:177] offset:19584                  // 0000000090E4: D89A4C80 0000B014
	ds_write_b64 v20, v[180:181] offset:23936                  // 0000000090EC: D89A5D80 0000B414
	ds_write_b64 v20, v[184:185] offset:28288                  // 0000000090F4: D89A6E80 0000B814
	s_waitcnt lgkmcnt(0)                                       // 0000000090FC: BF8CC07F
	s_barrier                                                  // 000000009100: BF8A0000
	ds_read_b32 v132, v21                                      // 000000009104: D86C0000 84000015
	ds_read_b32 v133, v21 offset:64                            // 00000000910C: D86C0040 85000015
	ds_read_b32 v136, v21 offset:2176                          // 000000009114: D86C0880 88000015
	ds_read_b32 v137, v21 offset:2240                          // 00000000911C: D86C08C0 89000015
	ds_read_b32 v140, v21 offset:4352                          // 000000009124: D86C1100 8C000015
	ds_read_b32 v141, v21 offset:4416                          // 00000000912C: D86C1140 8D000015
	ds_read_b32 v144, v21 offset:6528                          // 000000009134: D86C1980 90000015
	ds_read_b32 v145, v21 offset:6592                          // 00000000913C: D86C19C0 91000015
	ds_read_b32 v148, v21 offset:8704                          // 000000009144: D86C2200 94000015
	ds_read_b32 v149, v21 offset:8768                          // 00000000914C: D86C2240 95000015
	ds_read_b32 v152, v21 offset:10880                         // 000000009154: D86C2A80 98000015
	ds_read_b32 v153, v21 offset:10944                         // 00000000915C: D86C2AC0 99000015
	ds_read_b32 v156, v21 offset:13056                         // 000000009164: D86C3300 9C000015
	ds_read_b32 v157, v21 offset:13120                         // 00000000916C: D86C3340 9D000015
	ds_read_b32 v160, v21 offset:15232                         // 000000009174: D86C3B80 A0000015
	ds_read_b32 v161, v21 offset:15296                         // 00000000917C: D86C3BC0 A1000015
	ds_read_b32 v164, v21 offset:17408                         // 000000009184: D86C4400 A4000015
	ds_read_b32 v165, v21 offset:17472                         // 00000000918C: D86C4440 A5000015
	ds_read_b32 v168, v21 offset:19584                         // 000000009194: D86C4C80 A8000015
	ds_read_b32 v169, v21 offset:19648                         // 00000000919C: D86C4CC0 A9000015
	ds_read_b32 v172, v21 offset:21760                         // 0000000091A4: D86C5500 AC000015
	ds_read_b32 v173, v21 offset:21824                         // 0000000091AC: D86C5540 AD000015
	ds_read_b32 v176, v21 offset:23936                         // 0000000091B4: D86C5D80 B0000015
	ds_read_b32 v177, v21 offset:24000                         // 0000000091BC: D86C5DC0 B1000015
	ds_read_b32 v180, v21 offset:26112                         // 0000000091C4: D86C6600 B4000015
	ds_read_b32 v181, v21 offset:26176                         // 0000000091CC: D86C6640 B5000015
	ds_read_b32 v184, v21 offset:28288                         // 0000000091D4: D86C6E80 B8000015
	ds_read_b32 v185, v21 offset:28352                         // 0000000091DC: D86C6EC0 B9000015
	s_mul_i32 s60, s65, 4                                      // 0000000091E4: 923C8441
	s_add_u32 s8, s60, s8                                      // 0000000091E8: 8008083C
	s_addc_u32 s9, 0, s9                                       // 0000000091EC: 82090980
	s_waitcnt lgkmcnt(0)                                       // 0000000091F0: BF8CC07F
	v_mov_b32_e32 v7, 0                                        // 0000000091F4: 7E0E0280
	s_mov_b64 exec, s[36:37]                                   // 0000000091F8: BEFE0124
	v_mov_b32_e32 v6, v58                                      // 0000000091FC: 7E0C033A
	s_mov_b64 s[60:61], 0                                      // 000000009200: BEBC0180
	v_readlane_b32 s82, v3, 0                                  // 000000009204: D2890052 00010103
	s_and_b32 s82, s82, 0xffffff                               // 00000000920C: 8652FF52 00FFFFFF
	s_cmp_lt_u32 s82, s66                                      // 000000009214: BF0A4252
	s_cselect_b32 s20, s36, s60                                // 000000009218: 85143C24
	v_readlane_b32 s82, v3, 1                                  // 00000000921C: D2890052 00010303
	s_and_b32 s82, s82, 0xffffff                               // 000000009224: 8652FF52 00FFFFFF
	s_cmp_lt_u32 s82, s66                                      // 00000000922C: BF0A4252
	s_cselect_b32 s21, s36, s60                                // 000000009230: 85153C24
	s_mov_b64 exec, s[20:21]                                   // 000000009234: BEFE0114
	global_atomic_add_f32 v6, v132, s[8:9]                     // 000000009238: DD348000 00088406
	global_atomic_add_f32 v6, v136, s[8:9] offset:256          // 000000009240: DD348100 00088806
	s_mov_b64 exec, s[36:37]                                   // 000000009248: BEFE0124
	v_mov_b32_e32 v6, v59                                      // 00000000924C: 7E0C033B
	s_mov_b64 s[60:61], 0                                      // 000000009250: BEBC0180
	v_readlane_b32 s82, v3, 2                                  // 000000009254: D2890052 00010503
	s_and_b32 s82, s82, 0xffffff                               // 00000000925C: 8652FF52 00FFFFFF
	s_cmp_lt_u32 s82, s66                                      // 000000009264: BF0A4252
	s_cselect_b32 s20, s36, s60                                // 000000009268: 85143C24
	v_readlane_b32 s82, v3, 3                                  // 00000000926C: D2890052 00010703
	s_and_b32 s82, s82, 0xffffff                               // 000000009274: 8652FF52 00FFFFFF
	s_cmp_lt_u32 s82, s66                                      // 00000000927C: BF0A4252
	s_cselect_b32 s21, s36, s60                                // 000000009280: 85153C24
	s_mov_b64 exec, s[20:21]                                   // 000000009284: BEFE0114
	global_atomic_add_f32 v6, v133, s[8:9]                     // 000000009288: DD348000 00088506
	global_atomic_add_f32 v6, v137, s[8:9] offset:256          // 000000009290: DD348100 00088906
	s_mov_b64 exec, s[36:37]                                   // 000000009298: BEFE0124
	v_mov_b32_e32 v6, v60                                      // 00000000929C: 7E0C033C
	s_mov_b64 s[60:61], 0                                      // 0000000092A0: BEBC0180
	v_readlane_b32 s82, v3, 4                                  // 0000000092A4: D2890052 00010903
	s_and_b32 s82, s82, 0xffffff                               // 0000000092AC: 8652FF52 00FFFFFF
	s_cmp_lt_u32 s82, s66                                      // 0000000092B4: BF0A4252
	s_cselect_b32 s20, s36, s60                                // 0000000092B8: 85143C24
	v_readlane_b32 s82, v3, 5                                  // 0000000092BC: D2890052 00010B03
	s_and_b32 s82, s82, 0xffffff                               // 0000000092C4: 8652FF52 00FFFFFF
	s_cmp_lt_u32 s82, s66                                      // 0000000092CC: BF0A4252
	s_cselect_b32 s21, s36, s60                                // 0000000092D0: 85153C24
	s_mov_b64 exec, s[20:21]                                   // 0000000092D4: BEFE0114
	global_atomic_add_f32 v6, v140, s[8:9]                     // 0000000092D8: DD348000 00088C06
	global_atomic_add_f32 v6, v144, s[8:9] offset:256          // 0000000092E0: DD348100 00089006
	s_mov_b64 exec, s[36:37]                                   // 0000000092E8: BEFE0124
	v_mov_b32_e32 v6, v61                                      // 0000000092EC: 7E0C033D
	s_mov_b64 s[60:61], 0                                      // 0000000092F0: BEBC0180
	v_readlane_b32 s82, v3, 6                                  // 0000000092F4: D2890052 00010D03
	s_and_b32 s82, s82, 0xffffff                               // 0000000092FC: 8652FF52 00FFFFFF
	s_cmp_lt_u32 s82, s66                                      // 000000009304: BF0A4252
	s_cselect_b32 s20, s36, s60                                // 000000009308: 85143C24
	v_readlane_b32 s82, v3, 7                                  // 00000000930C: D2890052 00010F03
	s_and_b32 s82, s82, 0xffffff                               // 000000009314: 8652FF52 00FFFFFF
	s_cmp_lt_u32 s82, s66                                      // 00000000931C: BF0A4252
	s_cselect_b32 s21, s36, s60                                // 000000009320: 85153C24
	s_mov_b64 exec, s[20:21]                                   // 000000009324: BEFE0114
	global_atomic_add_f32 v6, v141, s[8:9]                     // 000000009328: DD348000 00088D06
	global_atomic_add_f32 v6, v145, s[8:9] offset:256          // 000000009330: DD348100 00089106
	s_mov_b64 exec, s[36:37]                                   // 000000009338: BEFE0124
	v_mov_b32_e32 v6, v62                                      // 00000000933C: 7E0C033E
	s_mov_b64 s[60:61], 0                                      // 000000009340: BEBC0180
	v_readlane_b32 s82, v3, 8                                  // 000000009344: D2890052 00011103
	s_and_b32 s82, s82, 0xffffff                               // 00000000934C: 8652FF52 00FFFFFF
	s_cmp_lt_u32 s82, s66                                      // 000000009354: BF0A4252
	s_cselect_b32 s20, s36, s60                                // 000000009358: 85143C24
	v_readlane_b32 s82, v3, 9                                  // 00000000935C: D2890052 00011303
	s_and_b32 s82, s82, 0xffffff                               // 000000009364: 8652FF52 00FFFFFF
	s_cmp_lt_u32 s82, s66                                      // 00000000936C: BF0A4252
	s_cselect_b32 s21, s36, s60                                // 000000009370: 85153C24
	s_mov_b64 exec, s[20:21]                                   // 000000009374: BEFE0114
	global_atomic_add_f32 v6, v148, s[8:9]                     // 000000009378: DD348000 00089406
	global_atomic_add_f32 v6, v152, s[8:9] offset:256          // 000000009380: DD348100 00089806
	s_mov_b64 exec, s[36:37]                                   // 000000009388: BEFE0124
	v_mov_b32_e32 v6, v63                                      // 00000000938C: 7E0C033F
	s_mov_b64 s[60:61], 0                                      // 000000009390: BEBC0180
	v_readlane_b32 s82, v3, 10                                 // 000000009394: D2890052 00011503
	s_and_b32 s82, s82, 0xffffff                               // 00000000939C: 8652FF52 00FFFFFF
	s_cmp_lt_u32 s82, s66                                      // 0000000093A4: BF0A4252
	s_cselect_b32 s20, s36, s60                                // 0000000093A8: 85143C24
	v_readlane_b32 s82, v3, 11                                 // 0000000093AC: D2890052 00011703
	s_and_b32 s82, s82, 0xffffff                               // 0000000093B4: 8652FF52 00FFFFFF
	s_cmp_lt_u32 s82, s66                                      // 0000000093BC: BF0A4252
	s_cselect_b32 s21, s36, s60                                // 0000000093C0: 85153C24
	s_mov_b64 exec, s[20:21]                                   // 0000000093C4: BEFE0114
	global_atomic_add_f32 v6, v149, s[8:9]                     // 0000000093C8: DD348000 00089506
	global_atomic_add_f32 v6, v153, s[8:9] offset:256          // 0000000093D0: DD348100 00089906
	s_mov_b64 exec, s[36:37]                                   // 0000000093D8: BEFE0124
	v_mov_b32_e32 v6, v64                                      // 0000000093DC: 7E0C0340
	s_mov_b64 s[60:61], 0                                      // 0000000093E0: BEBC0180
	v_readlane_b32 s82, v3, 12                                 // 0000000093E4: D2890052 00011903
	s_and_b32 s82, s82, 0xffffff                               // 0000000093EC: 8652FF52 00FFFFFF
	s_cmp_lt_u32 s82, s66                                      // 0000000093F4: BF0A4252
	s_cselect_b32 s20, s36, s60                                // 0000000093F8: 85143C24
	v_readlane_b32 s82, v3, 13                                 // 0000000093FC: D2890052 00011B03
	s_and_b32 s82, s82, 0xffffff                               // 000000009404: 8652FF52 00FFFFFF
	s_cmp_lt_u32 s82, s66                                      // 00000000940C: BF0A4252
	s_cselect_b32 s21, s36, s60                                // 000000009410: 85153C24
	s_mov_b64 exec, s[20:21]                                   // 000000009414: BEFE0114
	global_atomic_add_f32 v6, v156, s[8:9]                     // 000000009418: DD348000 00089C06
	global_atomic_add_f32 v6, v160, s[8:9] offset:256          // 000000009420: DD348100 0008A006
	s_mov_b64 exec, s[36:37]                                   // 000000009428: BEFE0124
	v_mov_b32_e32 v6, v65                                      // 00000000942C: 7E0C0341
	s_mov_b64 s[60:61], 0                                      // 000000009430: BEBC0180
	v_readlane_b32 s82, v3, 14                                 // 000000009434: D2890052 00011D03
	s_and_b32 s82, s82, 0xffffff                               // 00000000943C: 8652FF52 00FFFFFF
	s_cmp_lt_u32 s82, s66                                      // 000000009444: BF0A4252
	s_cselect_b32 s20, s36, s60                                // 000000009448: 85143C24
	v_readlane_b32 s82, v3, 15                                 // 00000000944C: D2890052 00011F03
	s_and_b32 s82, s82, 0xffffff                               // 000000009454: 8652FF52 00FFFFFF
	s_cmp_lt_u32 s82, s66                                      // 00000000945C: BF0A4252
	s_cselect_b32 s21, s36, s60                                // 000000009460: 85153C24
	s_mov_b64 exec, s[20:21]                                   // 000000009464: BEFE0114
	global_atomic_add_f32 v6, v157, s[8:9]                     // 000000009468: DD348000 00089D06
	global_atomic_add_f32 v6, v161, s[8:9] offset:256          // 000000009470: DD348100 0008A106
	s_mov_b64 exec, s[36:37]                                   // 000000009478: BEFE0124
	v_mov_b32_e32 v6, v66                                      // 00000000947C: 7E0C0342
	s_mov_b64 s[60:61], 0                                      // 000000009480: BEBC0180
	v_readlane_b32 s82, v3, 16                                 // 000000009484: D2890052 00012103
	s_and_b32 s82, s82, 0xffffff                               // 00000000948C: 8652FF52 00FFFFFF
	s_cmp_lt_u32 s82, s66                                      // 000000009494: BF0A4252
	s_cselect_b32 s20, s36, s60                                // 000000009498: 85143C24
	v_readlane_b32 s82, v3, 17                                 // 00000000949C: D2890052 00012303
	s_and_b32 s82, s82, 0xffffff                               // 0000000094A4: 8652FF52 00FFFFFF
	s_cmp_lt_u32 s82, s66                                      // 0000000094AC: BF0A4252
	s_cselect_b32 s21, s36, s60                                // 0000000094B0: 85153C24
	s_mov_b64 exec, s[20:21]                                   // 0000000094B4: BEFE0114
	global_atomic_add_f32 v6, v164, s[8:9]                     // 0000000094B8: DD348000 0008A406
	global_atomic_add_f32 v6, v168, s[8:9] offset:256          // 0000000094C0: DD348100 0008A806
	s_mov_b64 exec, s[36:37]                                   // 0000000094C8: BEFE0124
	v_mov_b32_e32 v6, v67                                      // 0000000094CC: 7E0C0343
	s_mov_b64 s[60:61], 0                                      // 0000000094D0: BEBC0180
	v_readlane_b32 s82, v3, 18                                 // 0000000094D4: D2890052 00012503
	s_and_b32 s82, s82, 0xffffff                               // 0000000094DC: 8652FF52 00FFFFFF
	s_cmp_lt_u32 s82, s66                                      // 0000000094E4: BF0A4252
	s_cselect_b32 s20, s36, s60                                // 0000000094E8: 85143C24
	v_readlane_b32 s82, v3, 19                                 // 0000000094EC: D2890052 00012703
	s_and_b32 s82, s82, 0xffffff                               // 0000000094F4: 8652FF52 00FFFFFF
	s_cmp_lt_u32 s82, s66                                      // 0000000094FC: BF0A4252
	s_cselect_b32 s21, s36, s60                                // 000000009500: 85153C24
	s_mov_b64 exec, s[20:21]                                   // 000000009504: BEFE0114
	global_atomic_add_f32 v6, v165, s[8:9]                     // 000000009508: DD348000 0008A506
	global_atomic_add_f32 v6, v169, s[8:9] offset:256          // 000000009510: DD348100 0008A906
	s_mov_b64 exec, s[36:37]                                   // 000000009518: BEFE0124
	v_mov_b32_e32 v6, v68                                      // 00000000951C: 7E0C0344
	s_mov_b64 s[60:61], 0                                      // 000000009520: BEBC0180
	v_readlane_b32 s82, v3, 20                                 // 000000009524: D2890052 00012903
	s_and_b32 s82, s82, 0xffffff                               // 00000000952C: 8652FF52 00FFFFFF
	s_cmp_lt_u32 s82, s66                                      // 000000009534: BF0A4252
	s_cselect_b32 s20, s36, s60                                // 000000009538: 85143C24
	v_readlane_b32 s82, v3, 21                                 // 00000000953C: D2890052 00012B03
	s_and_b32 s82, s82, 0xffffff                               // 000000009544: 8652FF52 00FFFFFF
	s_cmp_lt_u32 s82, s66                                      // 00000000954C: BF0A4252
	s_cselect_b32 s21, s36, s60                                // 000000009550: 85153C24
	s_mov_b64 exec, s[20:21]                                   // 000000009554: BEFE0114
	global_atomic_add_f32 v6, v172, s[8:9]                     // 000000009558: DD348000 0008AC06
	global_atomic_add_f32 v6, v176, s[8:9] offset:256          // 000000009560: DD348100 0008B006
	s_mov_b64 exec, s[36:37]                                   // 000000009568: BEFE0124
	v_mov_b32_e32 v6, v69                                      // 00000000956C: 7E0C0345
	s_mov_b64 s[60:61], 0                                      // 000000009570: BEBC0180
	v_readlane_b32 s82, v3, 22                                 // 000000009574: D2890052 00012D03
	s_and_b32 s82, s82, 0xffffff                               // 00000000957C: 8652FF52 00FFFFFF
	s_cmp_lt_u32 s82, s66                                      // 000000009584: BF0A4252
	s_cselect_b32 s20, s36, s60                                // 000000009588: 85143C24
	v_readlane_b32 s82, v3, 23                                 // 00000000958C: D2890052 00012F03
	s_and_b32 s82, s82, 0xffffff                               // 000000009594: 8652FF52 00FFFFFF
	s_cmp_lt_u32 s82, s66                                      // 00000000959C: BF0A4252
	s_cselect_b32 s21, s36, s60                                // 0000000095A0: 85153C24
	s_mov_b64 exec, s[20:21]                                   // 0000000095A4: BEFE0114
	global_atomic_add_f32 v6, v173, s[8:9]                     // 0000000095A8: DD348000 0008AD06
	global_atomic_add_f32 v6, v177, s[8:9] offset:256          // 0000000095B0: DD348100 0008B106
	s_mov_b64 exec, s[36:37]                                   // 0000000095B8: BEFE0124
	v_mov_b32_e32 v6, v70                                      // 0000000095BC: 7E0C0346
	s_mov_b64 s[60:61], 0                                      // 0000000095C0: BEBC0180
	v_readlane_b32 s82, v3, 24                                 // 0000000095C4: D2890052 00013103
	s_and_b32 s82, s82, 0xffffff                               // 0000000095CC: 8652FF52 00FFFFFF
	s_cmp_lt_u32 s82, s66                                      // 0000000095D4: BF0A4252
	s_cselect_b32 s20, s36, s60                                // 0000000095D8: 85143C24
	v_readlane_b32 s82, v3, 25                                 // 0000000095DC: D2890052 00013303
	s_and_b32 s82, s82, 0xffffff                               // 0000000095E4: 8652FF52 00FFFFFF
	s_cmp_lt_u32 s82, s66                                      // 0000000095EC: BF0A4252
	s_cselect_b32 s21, s36, s60                                // 0000000095F0: 85153C24
	s_mov_b64 exec, s[20:21]                                   // 0000000095F4: BEFE0114
	global_atomic_add_f32 v6, v180, s[8:9]                     // 0000000095F8: DD348000 0008B406
	global_atomic_add_f32 v6, v184, s[8:9] offset:256          // 000000009600: DD348100 0008B806
	s_mov_b64 exec, s[36:37]                                   // 000000009608: BEFE0124
	v_mov_b32_e32 v6, v71                                      // 00000000960C: 7E0C0347
	s_mov_b64 s[60:61], 0                                      // 000000009610: BEBC0180
	v_readlane_b32 s82, v3, 26                                 // 000000009614: D2890052 00013503
	s_and_b32 s82, s82, 0xffffff                               // 00000000961C: 8652FF52 00FFFFFF
	s_cmp_lt_u32 s82, s66                                      // 000000009624: BF0A4252
	s_cselect_b32 s20, s36, s60                                // 000000009628: 85143C24
	v_readlane_b32 s82, v3, 27                                 // 00000000962C: D2890052 00013703
	s_and_b32 s82, s82, 0xffffff                               // 000000009634: 8652FF52 00FFFFFF
	s_cmp_lt_u32 s82, s66                                      // 00000000963C: BF0A4252
	s_cselect_b32 s21, s36, s60                                // 000000009640: 85153C24
	s_mov_b64 exec, s[20:21]                                   // 000000009644: BEFE0114
	global_atomic_add_f32 v6, v181, s[8:9]                     // 000000009648: DD348000 0008B506
	global_atomic_add_f32 v6, v185, s[8:9] offset:256          // 000000009650: DD348100 0008B906
	s_mov_b64 exec, s[36:37]                                   // 000000009658: BEFE0124
	ds_write_b64 v20, v[134:135]                               // 00000000965C: D89A0000 00008614
	ds_write_b64 v20, v[138:139] offset:4352                   // 000000009664: D89A1100 00008A14
	ds_write_b64 v20, v[142:143] offset:8704                   // 00000000966C: D89A2200 00008E14
	ds_write_b64 v20, v[146:147] offset:13056                  // 000000009674: D89A3300 00009214
	ds_write_b64 v20, v[150:151] offset:17408                  // 00000000967C: D89A4400 00009614
	ds_write_b64 v20, v[154:155] offset:21760                  // 000000009684: D89A5500 00009A14
	ds_write_b64 v20, v[158:159] offset:26112                  // 00000000968C: D89A6600 00009E14
	ds_write_b64 v20, v[162:163] offset:2176                   // 000000009694: D89A0880 0000A214
	ds_write_b64 v20, v[166:167] offset:6528                   // 00000000969C: D89A1980 0000A614
	ds_write_b64 v20, v[170:171] offset:10880                  // 0000000096A4: D89A2A80 0000AA14
	ds_write_b64 v20, v[174:175] offset:15232                  // 0000000096AC: D89A3B80 0000AE14
	ds_write_b64 v20, v[178:179] offset:19584                  // 0000000096B4: D89A4C80 0000B214
	ds_write_b64 v20, v[182:183] offset:23936                  // 0000000096BC: D89A5D80 0000B614
	ds_write_b64 v20, v[186:187] offset:28288                  // 0000000096C4: D89A6E80 0000BA14
	s_waitcnt lgkmcnt(0)                                       // 0000000096CC: BF8CC07F
	s_barrier                                                  // 0000000096D0: BF8A0000
	ds_read_b32 v134, v21                                      // 0000000096D4: D86C0000 86000015
	ds_read_b32 v135, v21 offset:64                            // 0000000096DC: D86C0040 87000015
	ds_read_b32 v138, v21 offset:2176                          // 0000000096E4: D86C0880 8A000015
	ds_read_b32 v139, v21 offset:2240                          // 0000000096EC: D86C08C0 8B000015
	ds_read_b32 v142, v21 offset:4352                          // 0000000096F4: D86C1100 8E000015
	ds_read_b32 v143, v21 offset:4416                          // 0000000096FC: D86C1140 8F000015
	ds_read_b32 v146, v21 offset:6528                          // 000000009704: D86C1980 92000015
	ds_read_b32 v147, v21 offset:6592                          // 00000000970C: D86C19C0 93000015
	ds_read_b32 v150, v21 offset:8704                          // 000000009714: D86C2200 96000015
	ds_read_b32 v151, v21 offset:8768                          // 00000000971C: D86C2240 97000015
	ds_read_b32 v154, v21 offset:10880                         // 000000009724: D86C2A80 9A000015
	ds_read_b32 v155, v21 offset:10944                         // 00000000972C: D86C2AC0 9B000015
	ds_read_b32 v158, v21 offset:13056                         // 000000009734: D86C3300 9E000015
	ds_read_b32 v159, v21 offset:13120                         // 00000000973C: D86C3340 9F000015
	ds_read_b32 v162, v21 offset:15232                         // 000000009744: D86C3B80 A2000015
	ds_read_b32 v163, v21 offset:15296                         // 00000000974C: D86C3BC0 A3000015
	ds_read_b32 v166, v21 offset:17408                         // 000000009754: D86C4400 A6000015
	ds_read_b32 v167, v21 offset:17472                         // 00000000975C: D86C4440 A7000015
	ds_read_b32 v170, v21 offset:19584                         // 000000009764: D86C4C80 AA000015
	ds_read_b32 v171, v21 offset:19648                         // 00000000976C: D86C4CC0 AB000015
	ds_read_b32 v174, v21 offset:21760                         // 000000009774: D86C5500 AE000015
	ds_read_b32 v175, v21 offset:21824                         // 00000000977C: D86C5540 AF000015
	ds_read_b32 v178, v21 offset:23936                         // 000000009784: D86C5D80 B2000015
	ds_read_b32 v179, v21 offset:24000                         // 00000000978C: D86C5DC0 B3000015
	ds_read_b32 v182, v21 offset:26112                         // 000000009794: D86C6600 B6000015
	ds_read_b32 v183, v21 offset:26176                         // 00000000979C: D86C6640 B7000015
	ds_read_b32 v186, v21 offset:28288                         // 0000000097A4: D86C6E80 BA000015
	ds_read_b32 v187, v21 offset:28352                         // 0000000097AC: D86C6EC0 BB000015
	s_waitcnt lgkmcnt(0)                                       // 0000000097B4: BF8CC07F
	v_mov_b32_e32 v7, 0                                        // 0000000097B8: 7E0E0280
	s_mov_b64 exec, s[36:37]                                   // 0000000097BC: BEFE0124
	v_mov_b32_e32 v6, v58                                      // 0000000097C0: 7E0C033A
	s_mov_b64 s[60:61], 0                                      // 0000000097C4: BEBC0180
	v_readlane_b32 s82, v3, 0                                  // 0000000097C8: D2890052 00010103
	s_and_b32 s82, s82, 0xffffff                               // 0000000097D0: 8652FF52 00FFFFFF
	s_cmp_lt_u32 s82, s66                                      // 0000000097D8: BF0A4252
	s_cselect_b32 s20, s36, s60                                // 0000000097DC: 85143C24
	v_readlane_b32 s82, v3, 1                                  // 0000000097E0: D2890052 00010303
	s_and_b32 s82, s82, 0xffffff                               // 0000000097E8: 8652FF52 00FFFFFF
	s_cmp_lt_u32 s82, s66                                      // 0000000097F0: BF0A4252
	s_cselect_b32 s21, s36, s60                                // 0000000097F4: 85153C24
	s_mov_b64 exec, s[20:21]                                   // 0000000097F8: BEFE0114
	global_atomic_add_f32 v6, v134, s[8:9] offset:8            // 0000000097FC: DD348008 00088606
	global_atomic_add_f32 v6, v138, s[8:9] offset:264          // 000000009804: DD348108 00088A06
	s_mov_b64 exec, s[36:37]                                   // 00000000980C: BEFE0124
	v_mov_b32_e32 v6, v59                                      // 000000009810: 7E0C033B
	s_mov_b64 s[60:61], 0                                      // 000000009814: BEBC0180
	v_readlane_b32 s82, v3, 2                                  // 000000009818: D2890052 00010503
	s_and_b32 s82, s82, 0xffffff                               // 000000009820: 8652FF52 00FFFFFF
	s_cmp_lt_u32 s82, s66                                      // 000000009828: BF0A4252
	s_cselect_b32 s20, s36, s60                                // 00000000982C: 85143C24
	v_readlane_b32 s82, v3, 3                                  // 000000009830: D2890052 00010703
	s_and_b32 s82, s82, 0xffffff                               // 000000009838: 8652FF52 00FFFFFF
	s_cmp_lt_u32 s82, s66                                      // 000000009840: BF0A4252
	s_cselect_b32 s21, s36, s60                                // 000000009844: 85153C24
	s_mov_b64 exec, s[20:21]                                   // 000000009848: BEFE0114
	global_atomic_add_f32 v6, v135, s[8:9] offset:8            // 00000000984C: DD348008 00088706
	global_atomic_add_f32 v6, v139, s[8:9] offset:264          // 000000009854: DD348108 00088B06
	s_mov_b64 exec, s[36:37]                                   // 00000000985C: BEFE0124
	v_mov_b32_e32 v6, v60                                      // 000000009860: 7E0C033C
	s_mov_b64 s[60:61], 0                                      // 000000009864: BEBC0180
	v_readlane_b32 s82, v3, 4                                  // 000000009868: D2890052 00010903
	s_and_b32 s82, s82, 0xffffff                               // 000000009870: 8652FF52 00FFFFFF
	s_cmp_lt_u32 s82, s66                                      // 000000009878: BF0A4252
	s_cselect_b32 s20, s36, s60                                // 00000000987C: 85143C24
	v_readlane_b32 s82, v3, 5                                  // 000000009880: D2890052 00010B03
	s_and_b32 s82, s82, 0xffffff                               // 000000009888: 8652FF52 00FFFFFF
	s_cmp_lt_u32 s82, s66                                      // 000000009890: BF0A4252
	s_cselect_b32 s21, s36, s60                                // 000000009894: 85153C24
	s_mov_b64 exec, s[20:21]                                   // 000000009898: BEFE0114
	global_atomic_add_f32 v6, v142, s[8:9] offset:8            // 00000000989C: DD348008 00088E06
	global_atomic_add_f32 v6, v146, s[8:9] offset:264          // 0000000098A4: DD348108 00089206
	s_mov_b64 exec, s[36:37]                                   // 0000000098AC: BEFE0124
	v_mov_b32_e32 v6, v61                                      // 0000000098B0: 7E0C033D
	s_mov_b64 s[60:61], 0                                      // 0000000098B4: BEBC0180
	v_readlane_b32 s82, v3, 6                                  // 0000000098B8: D2890052 00010D03
	s_and_b32 s82, s82, 0xffffff                               // 0000000098C0: 8652FF52 00FFFFFF
	s_cmp_lt_u32 s82, s66                                      // 0000000098C8: BF0A4252
	s_cselect_b32 s20, s36, s60                                // 0000000098CC: 85143C24
	v_readlane_b32 s82, v3, 7                                  // 0000000098D0: D2890052 00010F03
	s_and_b32 s82, s82, 0xffffff                               // 0000000098D8: 8652FF52 00FFFFFF
	s_cmp_lt_u32 s82, s66                                      // 0000000098E0: BF0A4252
	s_cselect_b32 s21, s36, s60                                // 0000000098E4: 85153C24
	s_mov_b64 exec, s[20:21]                                   // 0000000098E8: BEFE0114
	global_atomic_add_f32 v6, v143, s[8:9] offset:8            // 0000000098EC: DD348008 00088F06
	global_atomic_add_f32 v6, v147, s[8:9] offset:264          // 0000000098F4: DD348108 00089306
	s_mov_b64 exec, s[36:37]                                   // 0000000098FC: BEFE0124
	v_mov_b32_e32 v6, v62                                      // 000000009900: 7E0C033E
	s_mov_b64 s[60:61], 0                                      // 000000009904: BEBC0180
	v_readlane_b32 s82, v3, 8                                  // 000000009908: D2890052 00011103
	s_and_b32 s82, s82, 0xffffff                               // 000000009910: 8652FF52 00FFFFFF
	s_cmp_lt_u32 s82, s66                                      // 000000009918: BF0A4252
	s_cselect_b32 s20, s36, s60                                // 00000000991C: 85143C24
	v_readlane_b32 s82, v3, 9                                  // 000000009920: D2890052 00011303
	s_and_b32 s82, s82, 0xffffff                               // 000000009928: 8652FF52 00FFFFFF
	s_cmp_lt_u32 s82, s66                                      // 000000009930: BF0A4252
	s_cselect_b32 s21, s36, s60                                // 000000009934: 85153C24
	s_mov_b64 exec, s[20:21]                                   // 000000009938: BEFE0114
	global_atomic_add_f32 v6, v150, s[8:9] offset:8            // 00000000993C: DD348008 00089606
	global_atomic_add_f32 v6, v154, s[8:9] offset:264          // 000000009944: DD348108 00089A06
	s_mov_b64 exec, s[36:37]                                   // 00000000994C: BEFE0124
	v_mov_b32_e32 v6, v63                                      // 000000009950: 7E0C033F
	s_mov_b64 s[60:61], 0                                      // 000000009954: BEBC0180
	v_readlane_b32 s82, v3, 10                                 // 000000009958: D2890052 00011503
	s_and_b32 s82, s82, 0xffffff                               // 000000009960: 8652FF52 00FFFFFF
	s_cmp_lt_u32 s82, s66                                      // 000000009968: BF0A4252
	s_cselect_b32 s20, s36, s60                                // 00000000996C: 85143C24
	v_readlane_b32 s82, v3, 11                                 // 000000009970: D2890052 00011703
	s_and_b32 s82, s82, 0xffffff                               // 000000009978: 8652FF52 00FFFFFF
	s_cmp_lt_u32 s82, s66                                      // 000000009980: BF0A4252
	s_cselect_b32 s21, s36, s60                                // 000000009984: 85153C24
	s_mov_b64 exec, s[20:21]                                   // 000000009988: BEFE0114
	global_atomic_add_f32 v6, v151, s[8:9] offset:8            // 00000000998C: DD348008 00089706
	global_atomic_add_f32 v6, v155, s[8:9] offset:264          // 000000009994: DD348108 00089B06
	s_mov_b64 exec, s[36:37]                                   // 00000000999C: BEFE0124
	v_mov_b32_e32 v6, v64                                      // 0000000099A0: 7E0C0340
	s_mov_b64 s[60:61], 0                                      // 0000000099A4: BEBC0180
	v_readlane_b32 s82, v3, 12                                 // 0000000099A8: D2890052 00011903
	s_and_b32 s82, s82, 0xffffff                               // 0000000099B0: 8652FF52 00FFFFFF
	s_cmp_lt_u32 s82, s66                                      // 0000000099B8: BF0A4252
	s_cselect_b32 s20, s36, s60                                // 0000000099BC: 85143C24
	v_readlane_b32 s82, v3, 13                                 // 0000000099C0: D2890052 00011B03
	s_and_b32 s82, s82, 0xffffff                               // 0000000099C8: 8652FF52 00FFFFFF
	s_cmp_lt_u32 s82, s66                                      // 0000000099D0: BF0A4252
	s_cselect_b32 s21, s36, s60                                // 0000000099D4: 85153C24
	s_mov_b64 exec, s[20:21]                                   // 0000000099D8: BEFE0114
	global_atomic_add_f32 v6, v158, s[8:9] offset:8            // 0000000099DC: DD348008 00089E06
	global_atomic_add_f32 v6, v162, s[8:9] offset:264          // 0000000099E4: DD348108 0008A206
	s_mov_b64 exec, s[36:37]                                   // 0000000099EC: BEFE0124
	v_mov_b32_e32 v6, v65                                      // 0000000099F0: 7E0C0341
	s_mov_b64 s[60:61], 0                                      // 0000000099F4: BEBC0180
	v_readlane_b32 s82, v3, 14                                 // 0000000099F8: D2890052 00011D03
	s_and_b32 s82, s82, 0xffffff                               // 000000009A00: 8652FF52 00FFFFFF
	s_cmp_lt_u32 s82, s66                                      // 000000009A08: BF0A4252
	s_cselect_b32 s20, s36, s60                                // 000000009A0C: 85143C24
	v_readlane_b32 s82, v3, 15                                 // 000000009A10: D2890052 00011F03
	s_and_b32 s82, s82, 0xffffff                               // 000000009A18: 8652FF52 00FFFFFF
	s_cmp_lt_u32 s82, s66                                      // 000000009A20: BF0A4252
	s_cselect_b32 s21, s36, s60                                // 000000009A24: 85153C24
	s_mov_b64 exec, s[20:21]                                   // 000000009A28: BEFE0114
	global_atomic_add_f32 v6, v159, s[8:9] offset:8            // 000000009A2C: DD348008 00089F06
	global_atomic_add_f32 v6, v163, s[8:9] offset:264          // 000000009A34: DD348108 0008A306
	s_mov_b64 exec, s[36:37]                                   // 000000009A3C: BEFE0124
	v_mov_b32_e32 v6, v66                                      // 000000009A40: 7E0C0342
	s_mov_b64 s[60:61], 0                                      // 000000009A44: BEBC0180
	v_readlane_b32 s82, v3, 16                                 // 000000009A48: D2890052 00012103
	s_and_b32 s82, s82, 0xffffff                               // 000000009A50: 8652FF52 00FFFFFF
	s_cmp_lt_u32 s82, s66                                      // 000000009A58: BF0A4252
	s_cselect_b32 s20, s36, s60                                // 000000009A5C: 85143C24
	v_readlane_b32 s82, v3, 17                                 // 000000009A60: D2890052 00012303
	s_and_b32 s82, s82, 0xffffff                               // 000000009A68: 8652FF52 00FFFFFF
	s_cmp_lt_u32 s82, s66                                      // 000000009A70: BF0A4252
	s_cselect_b32 s21, s36, s60                                // 000000009A74: 85153C24
	s_mov_b64 exec, s[20:21]                                   // 000000009A78: BEFE0114
	global_atomic_add_f32 v6, v166, s[8:9] offset:8            // 000000009A7C: DD348008 0008A606
	global_atomic_add_f32 v6, v170, s[8:9] offset:264          // 000000009A84: DD348108 0008AA06
	s_mov_b64 exec, s[36:37]                                   // 000000009A8C: BEFE0124
	v_mov_b32_e32 v6, v67                                      // 000000009A90: 7E0C0343
	s_mov_b64 s[60:61], 0                                      // 000000009A94: BEBC0180
	v_readlane_b32 s82, v3, 18                                 // 000000009A98: D2890052 00012503
	s_and_b32 s82, s82, 0xffffff                               // 000000009AA0: 8652FF52 00FFFFFF
	s_cmp_lt_u32 s82, s66                                      // 000000009AA8: BF0A4252
	s_cselect_b32 s20, s36, s60                                // 000000009AAC: 85143C24
	v_readlane_b32 s82, v3, 19                                 // 000000009AB0: D2890052 00012703
	s_and_b32 s82, s82, 0xffffff                               // 000000009AB8: 8652FF52 00FFFFFF
	s_cmp_lt_u32 s82, s66                                      // 000000009AC0: BF0A4252
	s_cselect_b32 s21, s36, s60                                // 000000009AC4: 85153C24
	s_mov_b64 exec, s[20:21]                                   // 000000009AC8: BEFE0114
	global_atomic_add_f32 v6, v167, s[8:9] offset:8            // 000000009ACC: DD348008 0008A706
	global_atomic_add_f32 v6, v171, s[8:9] offset:264          // 000000009AD4: DD348108 0008AB06
	s_mov_b64 exec, s[36:37]                                   // 000000009ADC: BEFE0124
	v_mov_b32_e32 v6, v68                                      // 000000009AE0: 7E0C0344
	s_mov_b64 s[60:61], 0                                      // 000000009AE4: BEBC0180
	v_readlane_b32 s82, v3, 20                                 // 000000009AE8: D2890052 00012903
	s_and_b32 s82, s82, 0xffffff                               // 000000009AF0: 8652FF52 00FFFFFF
	s_cmp_lt_u32 s82, s66                                      // 000000009AF8: BF0A4252
	s_cselect_b32 s20, s36, s60                                // 000000009AFC: 85143C24
	v_readlane_b32 s82, v3, 21                                 // 000000009B00: D2890052 00012B03
	s_and_b32 s82, s82, 0xffffff                               // 000000009B08: 8652FF52 00FFFFFF
	s_cmp_lt_u32 s82, s66                                      // 000000009B10: BF0A4252
	s_cselect_b32 s21, s36, s60                                // 000000009B14: 85153C24
	s_mov_b64 exec, s[20:21]                                   // 000000009B18: BEFE0114
	global_atomic_add_f32 v6, v174, s[8:9] offset:8            // 000000009B1C: DD348008 0008AE06
	global_atomic_add_f32 v6, v178, s[8:9] offset:264          // 000000009B24: DD348108 0008B206
	s_mov_b64 exec, s[36:37]                                   // 000000009B2C: BEFE0124
	v_mov_b32_e32 v6, v69                                      // 000000009B30: 7E0C0345
	s_mov_b64 s[60:61], 0                                      // 000000009B34: BEBC0180
	v_readlane_b32 s82, v3, 22                                 // 000000009B38: D2890052 00012D03
	s_and_b32 s82, s82, 0xffffff                               // 000000009B40: 8652FF52 00FFFFFF
	s_cmp_lt_u32 s82, s66                                      // 000000009B48: BF0A4252
	s_cselect_b32 s20, s36, s60                                // 000000009B4C: 85143C24
	v_readlane_b32 s82, v3, 23                                 // 000000009B50: D2890052 00012F03
	s_and_b32 s82, s82, 0xffffff                               // 000000009B58: 8652FF52 00FFFFFF
	s_cmp_lt_u32 s82, s66                                      // 000000009B60: BF0A4252
	s_cselect_b32 s21, s36, s60                                // 000000009B64: 85153C24
	s_mov_b64 exec, s[20:21]                                   // 000000009B68: BEFE0114
	global_atomic_add_f32 v6, v175, s[8:9] offset:8            // 000000009B6C: DD348008 0008AF06
	global_atomic_add_f32 v6, v179, s[8:9] offset:264          // 000000009B74: DD348108 0008B306
	s_mov_b64 exec, s[36:37]                                   // 000000009B7C: BEFE0124
	v_mov_b32_e32 v6, v70                                      // 000000009B80: 7E0C0346
	s_mov_b64 s[60:61], 0                                      // 000000009B84: BEBC0180
	v_readlane_b32 s82, v3, 24                                 // 000000009B88: D2890052 00013103
	s_and_b32 s82, s82, 0xffffff                               // 000000009B90: 8652FF52 00FFFFFF
	s_cmp_lt_u32 s82, s66                                      // 000000009B98: BF0A4252
	s_cselect_b32 s20, s36, s60                                // 000000009B9C: 85143C24
	v_readlane_b32 s82, v3, 25                                 // 000000009BA0: D2890052 00013303
	s_and_b32 s82, s82, 0xffffff                               // 000000009BA8: 8652FF52 00FFFFFF
	s_cmp_lt_u32 s82, s66                                      // 000000009BB0: BF0A4252
	s_cselect_b32 s21, s36, s60                                // 000000009BB4: 85153C24
	s_mov_b64 exec, s[20:21]                                   // 000000009BB8: BEFE0114
	global_atomic_add_f32 v6, v182, s[8:9] offset:8            // 000000009BBC: DD348008 0008B606
	global_atomic_add_f32 v6, v186, s[8:9] offset:264          // 000000009BC4: DD348108 0008BA06
	s_mov_b64 exec, s[36:37]                                   // 000000009BCC: BEFE0124
	v_mov_b32_e32 v6, v71                                      // 000000009BD0: 7E0C0347
	s_mov_b64 s[60:61], 0                                      // 000000009BD4: BEBC0180
	v_readlane_b32 s82, v3, 26                                 // 000000009BD8: D2890052 00013503
	s_and_b32 s82, s82, 0xffffff                               // 000000009BE0: 8652FF52 00FFFFFF
	s_cmp_lt_u32 s82, s66                                      // 000000009BE8: BF0A4252
	s_cselect_b32 s20, s36, s60                                // 000000009BEC: 85143C24
	v_readlane_b32 s82, v3, 27                                 // 000000009BF0: D2890052 00013703
	s_and_b32 s82, s82, 0xffffff                               // 000000009BF8: 8652FF52 00FFFFFF
	s_cmp_lt_u32 s82, s66                                      // 000000009C00: BF0A4252
	s_cselect_b32 s21, s36, s60                                // 000000009C04: 85153C24
	s_mov_b64 exec, s[20:21]                                   // 000000009C08: BEFE0114
	global_atomic_add_f32 v6, v183, s[8:9] offset:8            // 000000009C0C: DD348008 0008B706
	global_atomic_add_f32 v6, v187, s[8:9] offset:264          // 000000009C14: DD348108 0008BB06
	s_mov_b64 exec, s[36:37]                                   // 000000009C1C: BEFE0124
	s_branch label_35C6                                        // 000000009C20: BF82193A

0000000000009c24 <label_1C8C>:
	s_waitcnt vmcnt(18) lgkmcnt(0)                             // 000000009C24: BF8C4072
	v_mfma_i32_16x16x32_i8 v[76:79], a[112:113], a[0:1], v[76:79]// 000000009C28: D3D7004C 1D320170
	buffer_load_dwordx4 a[144:147], v72, s[24:27], 0 offen     // 000000009C30: E05C1000 80869048
	v_mfma_i32_16x16x32_i8 v[76:79], a[114:115], a[2:3], v[76:79]// 000000009C38: D3D7004C 1D320572
	v_mfma_i32_16x16x32_i8 v[76:79], a[116:117], a[4:5], v[76:79]// 000000009C40: D3D7004C 1D320974
	v_mfma_i32_16x16x32_i8 v[76:79], a[118:119], a[6:7], v[76:79]// 000000009C48: D3D7004C 1D320D76
	v_mfma_i32_16x16x32_i8 v[104:107], a[120:121], a[0:1], v[104:107]// 000000009C50: D3D70068 1DA20178
	buffer_load_dwordx4 a[148:151], v72, s[24:27], 0 offen offset:1024// 000000009C58: E05C1400 80869448
	v_mfma_i32_16x16x32_i8 v[104:107], a[122:123], a[2:3], v[104:107]// 000000009C60: D3D70068 1DA2057A
	v_mfma_i32_16x16x32_i8 v[104:107], a[124:125], a[4:5], v[104:107]// 000000009C68: D3D70068 1DA2097C
	v_mfma_i32_16x16x32_i8 v[104:107], a[126:127], a[6:7], v[104:107]// 000000009C70: D3D70068 1DA20D7E
	v_mfma_i32_16x16x32_i8 v[80:83], a[112:113], a[8:9], v[80:83]// 000000009C78: D3D70050 1D421170
	buffer_load_dwordx4 a[152:155], v73, s[24:27], 0 offen     // 000000009C80: E05C1000 80869849
	v_mfma_i32_16x16x32_i8 v[80:83], a[114:115], a[10:11], v[80:83]// 000000009C88: D3D70050 1D421572
	v_mfma_i32_16x16x32_i8 v[80:83], a[116:117], a[12:13], v[80:83]// 000000009C90: D3D70050 1D421974
	v_mfma_i32_16x16x32_i8 v[80:83], a[118:119], a[14:15], v[80:83]// 000000009C98: D3D70050 1D421D76
	v_mfma_i32_16x16x32_i8 v[108:111], a[120:121], a[8:9], v[108:111]// 000000009CA0: D3D7006C 1DB21178
	buffer_load_dwordx4 a[156:159], v73, s[24:27], 0 offen offset:1024// 000000009CA8: E05C1400 80869C49
	buffer_load_dword v58, s[20:23], 0 offen lds               // 000000009CB0: E0511000 8005003A
	s_add_u32 m0, 0x100, s50                                   // 000000009CB8: 807C32FF 00000100
	v_mfma_i32_16x16x32_i8 v[108:111], a[122:123], a[10:11], v[108:111]// 000000009CC0: D3D7006C 1DB2157A
	v_mfma_i32_16x16x32_i8 v[108:111], a[124:125], a[12:13], v[108:111]// 000000009CC8: D3D7006C 1DB2197C
	buffer_load_dword v59, s[20:23], 0 offen lds               // 000000009CD0: E0511000 8005003B
	s_add_u32 m0, 0x200, s50                                   // 000000009CD8: 807C32FF 00000200
	v_mfma_i32_16x16x32_i8 v[108:111], a[126:127], a[14:15], v[108:111]// 000000009CE0: D3D7006C 1DB21D7E
	v_mfma_i32_16x16x32_i8 v[84:87], a[112:113], a[16:17], v[84:87]// 000000009CE8: D3D70054 1D522170
	buffer_load_dword v60, s[20:23], 0 offen lds               // 000000009CF0: E0511000 8005003C
	s_add_u32 m0, 0x300, s50                                   // 000000009CF8: 807C32FF 00000300
	v_mfma_i32_16x16x32_i8 v[84:87], a[114:115], a[18:19], v[84:87]// 000000009D00: D3D70054 1D522572
	v_mfma_i32_16x16x32_i8 v[84:87], a[116:117], a[20:21], v[84:87]// 000000009D08: D3D70054 1D522974
	buffer_load_dword v61, s[20:23], 0 offen lds               // 000000009D10: E0511000 8005003D
	s_add_u32 m0, 0x400, s50                                   // 000000009D18: 807C32FF 00000400
	v_mfma_i32_16x16x32_i8 v[84:87], a[118:119], a[22:23], v[84:87]// 000000009D20: D3D70054 1D522D76
	v_mfma_i32_16x16x32_i8 v[112:115], a[120:121], a[16:17], v[112:115]// 000000009D28: D3D70070 1DC22178
	buffer_load_dword v62, s[20:23], 0 offen lds               // 000000009D30: E0511000 8005003E
	s_add_u32 m0, 0x500, s50                                   // 000000009D38: 807C32FF 00000500
	v_mfma_i32_16x16x32_i8 v[112:115], a[122:123], a[18:19], v[112:115]// 000000009D40: D3D70070 1DC2257A
	v_mfma_i32_16x16x32_i8 v[112:115], a[124:125], a[20:21], v[112:115]// 000000009D48: D3D70070 1DC2297C
	buffer_load_dword v63, s[20:23], 0 offen lds               // 000000009D50: E0511000 8005003F
	s_add_u32 m0, 0x600, s50                                   // 000000009D58: 807C32FF 00000600
	v_mfma_i32_16x16x32_i8 v[112:115], a[126:127], a[22:23], v[112:115]// 000000009D60: D3D70070 1DC22D7E
	v_mfma_i32_16x16x32_i8 v[88:91], a[112:113], a[24:25], v[88:91]// 000000009D68: D3D70058 1D623170
	buffer_load_dword v64, s[20:23], 0 offen lds               // 000000009D70: E0511000 80050040
	s_add_u32 m0, 0x700, s50                                   // 000000009D78: 807C32FF 00000700
	v_mfma_i32_16x16x32_i8 v[88:91], a[114:115], a[26:27], v[88:91]// 000000009D80: D3D70058 1D623572
	v_mfma_i32_16x16x32_i8 v[88:91], a[116:117], a[28:29], v[88:91]// 000000009D88: D3D70058 1D623974
	buffer_load_dword v65, s[20:23], 0 offen lds               // 000000009D90: E0511000 80050041
	s_add_u32 m0, 0x800, s50                                   // 000000009D98: 807C32FF 00000800
	v_mfma_i32_16x16x32_i8 v[88:91], a[118:119], a[30:31], v[88:91]// 000000009DA0: D3D70058 1D623D76
	v_mfma_i32_16x16x32_i8 v[116:119], a[120:121], a[24:25], v[116:119]// 000000009DA8: D3D70074 1DD23178
	buffer_load_dword v66, s[20:23], 0 offen lds               // 000000009DB0: E0511000 80050042
	s_add_u32 m0, 0x900, s50                                   // 000000009DB8: 807C32FF 00000900
	v_mfma_i32_16x16x32_i8 v[116:119], a[122:123], a[26:27], v[116:119]// 000000009DC0: D3D70074 1DD2357A
	v_mfma_i32_16x16x32_i8 v[116:119], a[124:125], a[28:29], v[116:119]// 000000009DC8: D3D70074 1DD2397C
	buffer_load_dword v67, s[20:23], 0 offen lds               // 000000009DD0: E0511000 80050043
	s_add_u32 m0, 0xa00, s50                                   // 000000009DD8: 807C32FF 00000A00
	v_mfma_i32_16x16x32_i8 v[116:119], a[126:127], a[30:31], v[116:119]// 000000009DE0: D3D70074 1DD23D7E
	v_mfma_i32_16x16x32_i8 v[92:95], a[112:113], a[32:33], v[92:95]// 000000009DE8: D3D7005C 1D724170
	buffer_load_dword v68, s[20:23], 0 offen lds               // 000000009DF0: E0511000 80050044
	s_add_u32 m0, 0xb00, s50                                   // 000000009DF8: 807C32FF 00000B00
	v_mfma_i32_16x16x32_i8 v[92:95], a[114:115], a[34:35], v[92:95]// 000000009E00: D3D7005C 1D724572
	v_mfma_i32_16x16x32_i8 v[92:95], a[116:117], a[36:37], v[92:95]// 000000009E08: D3D7005C 1D724974
	buffer_load_dword v69, s[20:23], 0 offen lds               // 000000009E10: E0511000 80050045
	s_add_u32 m0, 0xc00, s50                                   // 000000009E18: 807C32FF 00000C00
	v_mfma_i32_16x16x32_i8 v[92:95], a[118:119], a[38:39], v[92:95]// 000000009E20: D3D7005C 1D724D76
	v_mfma_i32_16x16x32_i8 v[120:123], a[120:121], a[32:33], v[120:123]// 000000009E28: D3D70078 1DE24178
	buffer_load_dword v70, s[20:23], 0 offen lds               // 000000009E30: E0511000 80050046
	s_add_u32 m0, 0xd00, s50                                   // 000000009E38: 807C32FF 00000D00
	v_mfma_i32_16x16x32_i8 v[120:123], a[122:123], a[34:35], v[120:123]// 000000009E40: D3D70078 1DE2457A
	v_mfma_i32_16x16x32_i8 v[120:123], a[124:125], a[36:37], v[120:123]// 000000009E48: D3D70078 1DE2497C
	buffer_load_dword v71, s[20:23], 0 offen lds               // 000000009E50: E0511000 80050047
	s_add_u32 m0, 0, s48                                       // 000000009E58: 807C3080
	v_mfma_i32_16x16x32_i8 v[120:123], a[126:127], a[38:39], v[120:123]// 000000009E5C: D3D70078 1DE24D7E
	v_mfma_i32_16x16x32_i8 v[96:99], a[112:113], a[40:41], v[96:99]// 000000009E64: D3D70060 1D825170
	v_mfma_i32_16x16x32_i8 v[96:99], a[114:115], a[42:43], v[96:99]// 000000009E6C: D3D70060 1D825572
	v_mfma_i32_16x16x32_i8 v[96:99], a[116:117], a[44:45], v[96:99]// 000000009E74: D3D70060 1D825974
	v_mfma_i32_16x16x32_i8 v[96:99], a[118:119], a[46:47], v[96:99]// 000000009E7C: D3D70060 1D825D76
	v_mfma_i32_16x16x32_i8 v[124:127], a[120:121], a[40:41], v[124:127]// 000000009E84: D3D7007C 1DF25178
	v_mfma_i32_16x16x32_i8 v[124:127], a[122:123], a[42:43], v[124:127]// 000000009E8C: D3D7007C 1DF2557A
	v_mfma_i32_16x16x32_i8 v[124:127], a[124:125], a[44:45], v[124:127]// 000000009E94: D3D7007C 1DF2597C
	v_mfma_i32_16x16x32_i8 v[124:127], a[126:127], a[46:47], v[124:127]// 000000009E9C: D3D7007C 1DF25D7E
	v_mfma_i32_16x16x32_i8 v[100:103], a[112:113], a[48:49], v[100:103]// 000000009EA4: D3D70064 1D926170
	v_mfma_i32_16x16x32_i8 v[100:103], a[114:115], a[50:51], v[100:103]// 000000009EAC: D3D70064 1D926572
	v_mfma_i32_16x16x32_i8 v[100:103], a[116:117], a[52:53], v[100:103]// 000000009EB4: D3D70064 1D926974
	v_mfma_i32_16x16x32_i8 v[100:103], a[118:119], a[54:55], v[100:103]// 000000009EBC: D3D70064 1D926D76
	v_mfma_i32_16x16x32_i8 v[128:131], a[120:121], a[48:49], v[128:131]// 000000009EC4: D3D70080 1E026178
	v_mfma_i32_16x16x32_i8 v[128:131], a[122:123], a[50:51], v[128:131]// 000000009ECC: D3D70080 1E02657A
	v_mfma_i32_16x16x32_i8 v[128:131], a[124:125], a[52:53], v[128:131]// 000000009ED4: D3D70080 1E02697C
	v_mfma_i32_16x16x32_i8 v[128:131], a[126:127], a[54:55], v[128:131]// 000000009EDC: D3D70080 1E026D7E
	s_waitcnt vmcnt(18)                                        // 000000009EE4: BF8C4F72
	s_barrier                                                  // 000000009EE8: BF8A0000
	v_mfma_i32_16x16x32_i8 v[132:135], a[128:129], a[0:1], v[132:135]// 000000009EEC: D3D70084 1E120180
	buffer_load_dwordx4 a[112:115], v72, s[84:87], 0 offen     // 000000009EF4: E05C1000 80957048
	v_mfma_i32_16x16x32_i8 v[132:135], a[130:131], a[2:3], v[132:135]// 000000009EFC: D3D70084 1E120582
	v_mfma_i32_16x16x32_i8 v[132:135], a[132:133], a[4:5], v[132:135]// 000000009F04: D3D70084 1E120984
	ds_read_b128 a[56:59], v2 offset:14464                     // 000000009F0C: DBFE3880 38000002
	ds_read_b128 a[60:63], v2 offset:14528                     // 000000009F14: DBFE38C0 3C000002
	v_mfma_i32_16x16x32_i8 v[132:135], a[134:135], a[6:7], v[132:135]// 000000009F1C: D3D70084 1E120D86
	v_mfma_i32_16x16x32_i8 v[160:163], a[136:137], a[0:1], v[160:163]// 000000009F24: D3D700A0 1E820188
	buffer_load_dwordx4 a[116:119], v72, s[84:87], 0 offen offset:1024// 000000009F2C: E05C1400 80957448
	v_mfma_i32_16x16x32_i8 v[160:163], a[138:139], a[2:3], v[160:163]// 000000009F34: D3D700A0 1E82058A
	v_mfma_i32_16x16x32_i8 v[160:163], a[140:141], a[4:5], v[160:163]// 000000009F3C: D3D700A0 1E82098C
	ds_read_b128 a[64:67], v2 offset:14976                     // 000000009F44: DBFE3A80 40000002
	ds_read_b128 a[68:71], v2 offset:15040                     // 000000009F4C: DBFE3AC0 44000002
	v_mfma_i32_16x16x32_i8 v[160:163], a[142:143], a[6:7], v[160:163]// 000000009F54: D3D700A0 1E820D8E
	v_mfma_i32_16x16x32_i8 v[136:139], a[128:129], a[8:9], v[136:139]// 000000009F5C: D3D70088 1E221180
	buffer_load_dwordx4 a[120:123], v73, s[84:87], 0 offen     // 000000009F64: E05C1000 80957849
	v_mfma_i32_16x16x32_i8 v[136:139], a[130:131], a[10:11], v[136:139]// 000000009F6C: D3D70088 1E221582
	v_mfma_i32_16x16x32_i8 v[136:139], a[132:133], a[12:13], v[136:139]// 000000009F74: D3D70088 1E221984
	ds_read_b128 a[72:75], v2 offset:15488                     // 000000009F7C: DBFE3C80 48000002
	ds_read_b128 a[76:79], v2 offset:15552                     // 000000009F84: DBFE3CC0 4C000002
	v_mfma_i32_16x16x32_i8 v[136:139], a[134:135], a[14:15], v[136:139]// 000000009F8C: D3D70088 1E221D86
	v_mfma_i32_16x16x32_i8 v[164:167], a[136:137], a[8:9], v[164:167]// 000000009F94: D3D700A4 1E921188
	buffer_load_dwordx4 a[124:127], v73, s[84:87], 0 offen offset:1024// 000000009F9C: E05C1400 80957C49
	v_mfma_i32_16x16x32_i8 v[164:167], a[138:139], a[10:11], v[164:167]// 000000009FA4: D3D700A4 1E92158A
	v_mfma_i32_16x16x32_i8 v[164:167], a[140:141], a[12:13], v[164:167]// 000000009FAC: D3D700A4 1E92198C
	ds_read_b128 a[80:83], v2 offset:16000                     // 000000009FB4: DBFE3E80 50000002
	ds_read_b128 a[84:87], v2 offset:16064                     // 000000009FBC: DBFE3EC0 54000002
	v_mfma_i32_16x16x32_i8 v[164:167], a[142:143], a[14:15], v[164:167]// 000000009FC4: D3D700A4 1E921D8E
	v_mfma_i32_16x16x32_i8 v[140:143], a[128:129], a[16:17], v[140:143]// 000000009FCC: D3D7008C 1E322180
	v_mfma_i32_16x16x32_i8 v[140:143], a[130:131], a[18:19], v[140:143]// 000000009FD4: D3D7008C 1E322582
	v_mfma_i32_16x16x32_i8 v[140:143], a[132:133], a[20:21], v[140:143]// 000000009FDC: D3D7008C 1E322984
	ds_read_b128 a[88:91], v2 offset:16512                     // 000000009FE4: DBFE4080 58000002
	ds_read_b128 a[92:95], v2 offset:16576                     // 000000009FEC: DBFE40C0 5C000002
	v_mfma_i32_16x16x32_i8 v[140:143], a[134:135], a[22:23], v[140:143]// 000000009FF4: D3D7008C 1E322D86
	v_mfma_i32_16x16x32_i8 v[168:171], a[136:137], a[16:17], v[168:171]// 000000009FFC: D3D700A8 1EA22188
	v_mfma_i32_16x16x32_i8 v[168:171], a[138:139], a[18:19], v[168:171]// 00000000A004: D3D700A8 1EA2258A
	v_mfma_i32_16x16x32_i8 v[168:171], a[140:141], a[20:21], v[168:171]// 00000000A00C: D3D700A8 1EA2298C
	ds_read_b128 a[96:99], v2 offset:17024                     // 00000000A014: DBFE4280 60000002
	ds_read_b128 a[100:103], v2 offset:17088                   // 00000000A01C: DBFE42C0 64000002
	v_mfma_i32_16x16x32_i8 v[168:171], a[142:143], a[22:23], v[168:171]// 00000000A024: D3D700A8 1EA22D8E
	v_mfma_i32_16x16x32_i8 v[144:147], a[128:129], a[24:25], v[144:147]// 00000000A02C: D3D70090 1E423180
	v_mfma_i32_16x16x32_i8 v[144:147], a[130:131], a[26:27], v[144:147]// 00000000A034: D3D70090 1E423582
	v_mfma_i32_16x16x32_i8 v[144:147], a[132:133], a[28:29], v[144:147]// 00000000A03C: D3D70090 1E423984
	ds_read_b128 a[104:107], v2 offset:17536                   // 00000000A044: DBFE4480 68000002
	ds_read_b128 a[108:111], v2 offset:17600                   // 00000000A04C: DBFE44C0 6C000002
	v_mfma_i32_16x16x32_i8 v[144:147], a[134:135], a[30:31], v[144:147]// 00000000A054: D3D70090 1E423D86
	v_mfma_i32_16x16x32_i8 v[172:175], a[136:137], a[24:25], v[172:175]// 00000000A05C: D3D700AC 1EB23188
	v_mfma_i32_16x16x32_i8 v[172:175], a[138:139], a[26:27], v[172:175]// 00000000A064: D3D700AC 1EB2358A
	v_mfma_i32_16x16x32_i8 v[172:175], a[140:141], a[28:29], v[172:175]// 00000000A06C: D3D700AC 1EB2398C
	v_mfma_i32_16x16x32_i8 v[172:175], a[142:143], a[30:31], v[172:175]// 00000000A074: D3D700AC 1EB23D8E
	v_mfma_i32_16x16x32_i8 v[148:151], a[128:129], a[32:33], v[148:151]// 00000000A07C: D3D70094 1E524180
	v_mfma_i32_16x16x32_i8 v[148:151], a[130:131], a[34:35], v[148:151]// 00000000A084: D3D70094 1E524582
	v_mfma_i32_16x16x32_i8 v[148:151], a[132:133], a[36:37], v[148:151]// 00000000A08C: D3D70094 1E524984
	v_mfma_i32_16x16x32_i8 v[148:151], a[134:135], a[38:39], v[148:151]// 00000000A094: D3D70094 1E524D86
	v_mfma_i32_16x16x32_i8 v[176:179], a[136:137], a[32:33], v[176:179]// 00000000A09C: D3D700B0 1EC24188
	v_mfma_i32_16x16x32_i8 v[176:179], a[138:139], a[34:35], v[176:179]// 00000000A0A4: D3D700B0 1EC2458A
	v_mfma_i32_16x16x32_i8 v[176:179], a[140:141], a[36:37], v[176:179]// 00000000A0AC: D3D700B0 1EC2498C
	v_mfma_i32_16x16x32_i8 v[176:179], a[142:143], a[38:39], v[176:179]// 00000000A0B4: D3D700B0 1EC24D8E
	v_mfma_i32_16x16x32_i8 v[152:155], a[128:129], a[40:41], v[152:155]// 00000000A0BC: D3D70098 1E625180
	v_mfma_i32_16x16x32_i8 v[152:155], a[130:131], a[42:43], v[152:155]// 00000000A0C4: D3D70098 1E625582
	v_mfma_i32_16x16x32_i8 v[152:155], a[132:133], a[44:45], v[152:155]// 00000000A0CC: D3D70098 1E625984
	v_mfma_i32_16x16x32_i8 v[152:155], a[134:135], a[46:47], v[152:155]// 00000000A0D4: D3D70098 1E625D86
	v_mfma_i32_16x16x32_i8 v[180:183], a[136:137], a[40:41], v[180:183]// 00000000A0DC: D3D700B4 1ED25188
	v_mfma_i32_16x16x32_i8 v[180:183], a[138:139], a[42:43], v[180:183]// 00000000A0E4: D3D700B4 1ED2558A
	v_mfma_i32_16x16x32_i8 v[180:183], a[140:141], a[44:45], v[180:183]// 00000000A0EC: D3D700B4 1ED2598C
	v_mfma_i32_16x16x32_i8 v[180:183], a[142:143], a[46:47], v[180:183]// 00000000A0F4: D3D700B4 1ED25D8E
	v_mfma_i32_16x16x32_i8 v[156:159], a[128:129], a[48:49], v[156:159]// 00000000A0FC: D3D7009C 1E726180
	s_add_u32 s60, 0x180, s80                                  // 00000000A104: 803C50FF 00000180
	s_cmp_lt_u32 s60, s81                                      // 00000000A10C: BF0A513C
	s_cselect_b32 s57, s57, 0                                  // 00000000A110: 85398039
	v_mfma_i32_16x16x32_i8 v[156:159], a[130:131], a[50:51], v[156:159]// 00000000A114: D3D7009C 1E726582
	s_add_u32 s60, 0x100, s80                                  // 00000000A11C: 803C50FF 00000100
	s_cmp_lt_u32 s60, s81                                      // 00000000A124: BF0A513C
	s_cselect_b32 s58, s58, 0                                  // 00000000A128: 853A803A
	v_mfma_i32_16x16x32_i8 v[156:159], a[132:133], a[52:53], v[156:159]// 00000000A12C: D3D7009C 1E726984
	s_add_u32 s60, 0x100, s80                                  // 00000000A134: 803C50FF 00000100
	s_cmp_lt_u32 s60, s81                                      // 00000000A13C: BF0A513C
	s_cselect_b32 s83, s83, 0                                  // 00000000A140: 85538053
	v_mfma_i32_16x16x32_i8 v[156:159], a[134:135], a[54:55], v[156:159]// 00000000A144: D3D7009C 1E726D86
	s_add_u32 s24, s58, s24                                    // 00000000A14C: 8018183A
	s_addc_u32 s25, 0, s25                                     // 00000000A150: 82191980
	v_mfma_i32_16x16x32_i8 v[184:187], a[136:137], a[48:49], v[184:187]// 00000000A154: D3D700B8 1EE26188
	s_add_u32 s20, s57, s20                                    // 00000000A15C: 80141439
	s_addc_u32 s21, 0, s21                                     // 00000000A160: 82151580
	v_mfma_i32_16x16x32_i8 v[184:187], a[138:139], a[50:51], v[184:187]// 00000000A164: D3D700B8 1EE2658A
	s_add_u32 s84, s83, s84                                    // 00000000A16C: 80545453
	s_addc_u32 s85, 0, s85                                     // 00000000A170: 82555580
	v_mfma_i32_16x16x32_i8 v[184:187], a[140:141], a[52:53], v[184:187]// 00000000A174: D3D700B8 1EE2698C
	v_mfma_i32_16x16x32_i8 v[184:187], a[142:143], a[54:55], v[184:187]// 00000000A17C: D3D700B8 1EE26D8E
	s_addk_i32 s80, 0x80                                       // 00000000A184: B7500080
	s_cmp_lt_i32 s80, s81                                      // 00000000A188: BF045150
	s_cbranch_scc0 label_24AF                                  // 00000000A18C: BF8406C8
	s_waitcnt vmcnt(18) lgkmcnt(0)                             // 00000000A190: BF8C4072
	v_mfma_i32_16x16x32_i8 v[76:79], a[144:145], a[56:57], v[76:79]// 00000000A194: D3D7004C 1D327190
	buffer_load_dwordx4 a[128:131], v72, s[24:27], 0 offen     // 00000000A19C: E05C1000 80868048
	v_mfma_i32_16x16x32_i8 v[76:79], a[146:147], a[58:59], v[76:79]// 00000000A1A4: D3D7004C 1D327592
	v_mfma_i32_16x16x32_i8 v[76:79], a[148:149], a[60:61], v[76:79]// 00000000A1AC: D3D7004C 1D327994
	v_mfma_i32_16x16x32_i8 v[76:79], a[150:151], a[62:63], v[76:79]// 00000000A1B4: D3D7004C 1D327D96
	v_mfma_i32_16x16x32_i8 v[104:107], a[152:153], a[56:57], v[104:107]// 00000000A1BC: D3D70068 1DA27198
	buffer_load_dwordx4 a[132:135], v72, s[24:27], 0 offen offset:1024// 00000000A1C4: E05C1400 80868448
	v_mfma_i32_16x16x32_i8 v[104:107], a[154:155], a[58:59], v[104:107]// 00000000A1CC: D3D70068 1DA2759A
	v_mfma_i32_16x16x32_i8 v[104:107], a[156:157], a[60:61], v[104:107]// 00000000A1D4: D3D70068 1DA2799C
	v_mfma_i32_16x16x32_i8 v[104:107], a[158:159], a[62:63], v[104:107]// 00000000A1DC: D3D70068 1DA27D9E
	v_mfma_i32_16x16x32_i8 v[80:83], a[144:145], a[64:65], v[80:83]// 00000000A1E4: D3D70050 1D428190
	buffer_load_dwordx4 a[136:139], v73, s[24:27], 0 offen     // 00000000A1EC: E05C1000 80868849
	v_mfma_i32_16x16x32_i8 v[80:83], a[146:147], a[66:67], v[80:83]// 00000000A1F4: D3D70050 1D428592
	v_mfma_i32_16x16x32_i8 v[80:83], a[148:149], a[68:69], v[80:83]// 00000000A1FC: D3D70050 1D428994
	v_mfma_i32_16x16x32_i8 v[80:83], a[150:151], a[70:71], v[80:83]// 00000000A204: D3D70050 1D428D96
	v_mfma_i32_16x16x32_i8 v[108:111], a[152:153], a[64:65], v[108:111]// 00000000A20C: D3D7006C 1DB28198
	buffer_load_dwordx4 a[140:143], v73, s[24:27], 0 offen offset:1024// 00000000A214: E05C1400 80868C49
	buffer_load_dword v58, s[20:23], 0 offen lds               // 00000000A21C: E0511000 8005003A
	s_add_u32 m0, 0x100, s48                                   // 00000000A224: 807C30FF 00000100
	v_mfma_i32_16x16x32_i8 v[108:111], a[154:155], a[66:67], v[108:111]// 00000000A22C: D3D7006C 1DB2859A
	v_mfma_i32_16x16x32_i8 v[108:111], a[156:157], a[68:69], v[108:111]// 00000000A234: D3D7006C 1DB2899C
	buffer_load_dword v59, s[20:23], 0 offen lds               // 00000000A23C: E0511000 8005003B
	s_add_u32 m0, 0x200, s48                                   // 00000000A244: 807C30FF 00000200
	v_mfma_i32_16x16x32_i8 v[108:111], a[158:159], a[70:71], v[108:111]// 00000000A24C: D3D7006C 1DB28D9E
	v_mfma_i32_16x16x32_i8 v[84:87], a[144:145], a[72:73], v[84:87]// 00000000A254: D3D70054 1D529190
	buffer_load_dword v60, s[20:23], 0 offen lds               // 00000000A25C: E0511000 8005003C
	s_add_u32 m0, 0x300, s48                                   // 00000000A264: 807C30FF 00000300
	v_mfma_i32_16x16x32_i8 v[84:87], a[146:147], a[74:75], v[84:87]// 00000000A26C: D3D70054 1D529592
	v_mfma_i32_16x16x32_i8 v[84:87], a[148:149], a[76:77], v[84:87]// 00000000A274: D3D70054 1D529994
	buffer_load_dword v61, s[20:23], 0 offen lds               // 00000000A27C: E0511000 8005003D
	s_add_u32 m0, 0x400, s48                                   // 00000000A284: 807C30FF 00000400
	v_mfma_i32_16x16x32_i8 v[84:87], a[150:151], a[78:79], v[84:87]// 00000000A28C: D3D70054 1D529D96
	v_mfma_i32_16x16x32_i8 v[112:115], a[152:153], a[72:73], v[112:115]// 00000000A294: D3D70070 1DC29198
	buffer_load_dword v62, s[20:23], 0 offen lds               // 00000000A29C: E0511000 8005003E
	s_add_u32 m0, 0x500, s48                                   // 00000000A2A4: 807C30FF 00000500
	v_mfma_i32_16x16x32_i8 v[112:115], a[154:155], a[74:75], v[112:115]// 00000000A2AC: D3D70070 1DC2959A
	v_mfma_i32_16x16x32_i8 v[112:115], a[156:157], a[76:77], v[112:115]// 00000000A2B4: D3D70070 1DC2999C
	buffer_load_dword v63, s[20:23], 0 offen lds               // 00000000A2BC: E0511000 8005003F
	s_add_u32 m0, 0x600, s48                                   // 00000000A2C4: 807C30FF 00000600
	v_mfma_i32_16x16x32_i8 v[112:115], a[158:159], a[78:79], v[112:115]// 00000000A2CC: D3D70070 1DC29D9E
	v_mfma_i32_16x16x32_i8 v[88:91], a[144:145], a[80:81], v[88:91]// 00000000A2D4: D3D70058 1D62A190
	buffer_load_dword v64, s[20:23], 0 offen lds               // 00000000A2DC: E0511000 80050040
	s_add_u32 m0, 0x700, s48                                   // 00000000A2E4: 807C30FF 00000700
	v_mfma_i32_16x16x32_i8 v[88:91], a[146:147], a[82:83], v[88:91]// 00000000A2EC: D3D70058 1D62A592
	v_mfma_i32_16x16x32_i8 v[88:91], a[148:149], a[84:85], v[88:91]// 00000000A2F4: D3D70058 1D62A994
	buffer_load_dword v65, s[20:23], 0 offen lds               // 00000000A2FC: E0511000 80050041
	s_add_u32 m0, 0x800, s48                                   // 00000000A304: 807C30FF 00000800
	v_mfma_i32_16x16x32_i8 v[88:91], a[150:151], a[86:87], v[88:91]// 00000000A30C: D3D70058 1D62AD96
	v_mfma_i32_16x16x32_i8 v[116:119], a[152:153], a[80:81], v[116:119]// 00000000A314: D3D70074 1DD2A198
	buffer_load_dword v66, s[20:23], 0 offen lds               // 00000000A31C: E0511000 80050042
	s_add_u32 m0, 0x900, s48                                   // 00000000A324: 807C30FF 00000900
	v_mfma_i32_16x16x32_i8 v[116:119], a[154:155], a[82:83], v[116:119]// 00000000A32C: D3D70074 1DD2A59A
	v_mfma_i32_16x16x32_i8 v[116:119], a[156:157], a[84:85], v[116:119]// 00000000A334: D3D70074 1DD2A99C
	buffer_load_dword v67, s[20:23], 0 offen lds               // 00000000A33C: E0511000 80050043
	s_add_u32 m0, 0xa00, s48                                   // 00000000A344: 807C30FF 00000A00
	v_mfma_i32_16x16x32_i8 v[116:119], a[158:159], a[86:87], v[116:119]// 00000000A34C: D3D70074 1DD2AD9E
	v_mfma_i32_16x16x32_i8 v[92:95], a[144:145], a[88:89], v[92:95]// 00000000A354: D3D7005C 1D72B190
	buffer_load_dword v68, s[20:23], 0 offen lds               // 00000000A35C: E0511000 80050044
	s_add_u32 m0, 0xb00, s48                                   // 00000000A364: 807C30FF 00000B00
	v_mfma_i32_16x16x32_i8 v[92:95], a[146:147], a[90:91], v[92:95]// 00000000A36C: D3D7005C 1D72B592
	v_mfma_i32_16x16x32_i8 v[92:95], a[148:149], a[92:93], v[92:95]// 00000000A374: D3D7005C 1D72B994
	buffer_load_dword v69, s[20:23], 0 offen lds               // 00000000A37C: E0511000 80050045
	s_add_u32 m0, 0xc00, s48                                   // 00000000A384: 807C30FF 00000C00
	v_mfma_i32_16x16x32_i8 v[92:95], a[150:151], a[94:95], v[92:95]// 00000000A38C: D3D7005C 1D72BD96
	v_mfma_i32_16x16x32_i8 v[120:123], a[152:153], a[88:89], v[120:123]// 00000000A394: D3D70078 1DE2B198
	buffer_load_dword v70, s[20:23], 0 offen lds               // 00000000A39C: E0511000 80050046
	s_add_u32 m0, 0xd00, s48                                   // 00000000A3A4: 807C30FF 00000D00
	v_mfma_i32_16x16x32_i8 v[120:123], a[154:155], a[90:91], v[120:123]// 00000000A3AC: D3D70078 1DE2B59A
	v_mfma_i32_16x16x32_i8 v[120:123], a[156:157], a[92:93], v[120:123]// 00000000A3B4: D3D70078 1DE2B99C
	buffer_load_dword v71, s[20:23], 0 offen lds               // 00000000A3BC: E0511000 80050047
	s_add_u32 m0, 0, s49                                       // 00000000A3C4: 807C3180
	v_mfma_i32_16x16x32_i8 v[120:123], a[158:159], a[94:95], v[120:123]// 00000000A3C8: D3D70078 1DE2BD9E
	v_mfma_i32_16x16x32_i8 v[96:99], a[144:145], a[96:97], v[96:99]// 00000000A3D0: D3D70060 1D82C190
	v_mfma_i32_16x16x32_i8 v[96:99], a[146:147], a[98:99], v[96:99]// 00000000A3D8: D3D70060 1D82C592
	v_mfma_i32_16x16x32_i8 v[96:99], a[148:149], a[100:101], v[96:99]// 00000000A3E0: D3D70060 1D82C994
	v_mfma_i32_16x16x32_i8 v[96:99], a[150:151], a[102:103], v[96:99]// 00000000A3E8: D3D70060 1D82CD96
	v_mfma_i32_16x16x32_i8 v[124:127], a[152:153], a[96:97], v[124:127]// 00000000A3F0: D3D7007C 1DF2C198
	v_mfma_i32_16x16x32_i8 v[124:127], a[154:155], a[98:99], v[124:127]// 00000000A3F8: D3D7007C 1DF2C59A
	v_mfma_i32_16x16x32_i8 v[124:127], a[156:157], a[100:101], v[124:127]// 00000000A400: D3D7007C 1DF2C99C
	v_mfma_i32_16x16x32_i8 v[124:127], a[158:159], a[102:103], v[124:127]// 00000000A408: D3D7007C 1DF2CD9E
	v_mfma_i32_16x16x32_i8 v[100:103], a[144:145], a[104:105], v[100:103]// 00000000A410: D3D70064 1D92D190
	v_mfma_i32_16x16x32_i8 v[100:103], a[146:147], a[106:107], v[100:103]// 00000000A418: D3D70064 1D92D592
	v_mfma_i32_16x16x32_i8 v[100:103], a[148:149], a[108:109], v[100:103]// 00000000A420: D3D70064 1D92D994
	v_mfma_i32_16x16x32_i8 v[100:103], a[150:151], a[110:111], v[100:103]// 00000000A428: D3D70064 1D92DD96
	v_mfma_i32_16x16x32_i8 v[128:131], a[152:153], a[104:105], v[128:131]// 00000000A430: D3D70080 1E02D198
	v_mfma_i32_16x16x32_i8 v[128:131], a[154:155], a[106:107], v[128:131]// 00000000A438: D3D70080 1E02D59A
	v_mfma_i32_16x16x32_i8 v[128:131], a[156:157], a[108:109], v[128:131]// 00000000A440: D3D70080 1E02D99C
	v_mfma_i32_16x16x32_i8 v[128:131], a[158:159], a[110:111], v[128:131]// 00000000A448: D3D70080 1E02DD9E
	s_waitcnt vmcnt(18)                                        // 00000000A450: BF8C4F72
	s_barrier                                                  // 00000000A454: BF8A0000
	v_mfma_i32_16x16x32_i8 v[132:135], a[112:113], a[56:57], v[132:135]// 00000000A458: D3D70084 1E127170
	buffer_load_dwordx4 a[144:147], v72, s[84:87], 0 offen     // 00000000A460: E05C1000 80959048
	v_mfma_i32_16x16x32_i8 v[132:135], a[114:115], a[58:59], v[132:135]// 00000000A468: D3D70084 1E127572
	v_mfma_i32_16x16x32_i8 v[132:135], a[116:117], a[60:61], v[132:135]// 00000000A470: D3D70084 1E127974
	ds_read_b128 a[0:3], v2 offset:28928                       // 00000000A478: DBFE7100 00000002
	ds_read_b128 a[4:7], v2 offset:28992                       // 00000000A480: DBFE7140 04000002
	v_mfma_i32_16x16x32_i8 v[132:135], a[118:119], a[62:63], v[132:135]// 00000000A488: D3D70084 1E127D76
	v_mfma_i32_16x16x32_i8 v[160:163], a[120:121], a[56:57], v[160:163]// 00000000A490: D3D700A0 1E827178
	buffer_load_dwordx4 a[148:151], v72, s[84:87], 0 offen offset:1024// 00000000A498: E05C1400 80959448
	v_mfma_i32_16x16x32_i8 v[160:163], a[122:123], a[58:59], v[160:163]// 00000000A4A0: D3D700A0 1E82757A
	v_mfma_i32_16x16x32_i8 v[160:163], a[124:125], a[60:61], v[160:163]// 00000000A4A8: D3D700A0 1E82797C
	ds_read_b128 a[8:11], v2 offset:29440                      // 00000000A4B0: DBFE7300 08000002
	ds_read_b128 a[12:15], v2 offset:29504                     // 00000000A4B8: DBFE7340 0C000002
	v_mfma_i32_16x16x32_i8 v[160:163], a[126:127], a[62:63], v[160:163]// 00000000A4C0: D3D700A0 1E827D7E
	v_mfma_i32_16x16x32_i8 v[136:139], a[112:113], a[64:65], v[136:139]// 00000000A4C8: D3D70088 1E228170
	buffer_load_dwordx4 a[152:155], v73, s[84:87], 0 offen     // 00000000A4D0: E05C1000 80959849
	v_mfma_i32_16x16x32_i8 v[136:139], a[114:115], a[66:67], v[136:139]// 00000000A4D8: D3D70088 1E228572
	v_mfma_i32_16x16x32_i8 v[136:139], a[116:117], a[68:69], v[136:139]// 00000000A4E0: D3D70088 1E228974
	ds_read_b128 a[16:19], v2 offset:29952                     // 00000000A4E8: DBFE7500 10000002
	ds_read_b128 a[20:23], v2 offset:30016                     // 00000000A4F0: DBFE7540 14000002
	v_mfma_i32_16x16x32_i8 v[136:139], a[118:119], a[70:71], v[136:139]// 00000000A4F8: D3D70088 1E228D76
	v_mfma_i32_16x16x32_i8 v[164:167], a[120:121], a[64:65], v[164:167]// 00000000A500: D3D700A4 1E928178
	buffer_load_dwordx4 a[156:159], v73, s[84:87], 0 offen offset:1024// 00000000A508: E05C1400 80959C49
	v_mfma_i32_16x16x32_i8 v[164:167], a[122:123], a[66:67], v[164:167]// 00000000A510: D3D700A4 1E92857A
	v_mfma_i32_16x16x32_i8 v[164:167], a[124:125], a[68:69], v[164:167]// 00000000A518: D3D700A4 1E92897C
	ds_read_b128 a[24:27], v2 offset:30464                     // 00000000A520: DBFE7700 18000002
	ds_read_b128 a[28:31], v2 offset:30528                     // 00000000A528: DBFE7740 1C000002
	v_mfma_i32_16x16x32_i8 v[164:167], a[126:127], a[70:71], v[164:167]// 00000000A530: D3D700A4 1E928D7E
	v_mfma_i32_16x16x32_i8 v[140:143], a[112:113], a[72:73], v[140:143]// 00000000A538: D3D7008C 1E329170
	v_mfma_i32_16x16x32_i8 v[140:143], a[114:115], a[74:75], v[140:143]// 00000000A540: D3D7008C 1E329572
	v_mfma_i32_16x16x32_i8 v[140:143], a[116:117], a[76:77], v[140:143]// 00000000A548: D3D7008C 1E329974
	ds_read_b128 a[32:35], v2 offset:30976                     // 00000000A550: DBFE7900 20000002
	ds_read_b128 a[36:39], v2 offset:31040                     // 00000000A558: DBFE7940 24000002
	v_mfma_i32_16x16x32_i8 v[140:143], a[118:119], a[78:79], v[140:143]// 00000000A560: D3D7008C 1E329D76
	v_mfma_i32_16x16x32_i8 v[168:171], a[120:121], a[72:73], v[168:171]// 00000000A568: D3D700A8 1EA29178
	v_mfma_i32_16x16x32_i8 v[168:171], a[122:123], a[74:75], v[168:171]// 00000000A570: D3D700A8 1EA2957A
	v_mfma_i32_16x16x32_i8 v[168:171], a[124:125], a[76:77], v[168:171]// 00000000A578: D3D700A8 1EA2997C
	ds_read_b128 a[40:43], v2 offset:31488                     // 00000000A580: DBFE7B00 28000002
	ds_read_b128 a[44:47], v2 offset:31552                     // 00000000A588: DBFE7B40 2C000002
	v_mfma_i32_16x16x32_i8 v[168:171], a[126:127], a[78:79], v[168:171]// 00000000A590: D3D700A8 1EA29D7E
	v_mfma_i32_16x16x32_i8 v[144:147], a[112:113], a[80:81], v[144:147]// 00000000A598: D3D70090 1E42A170
	v_mfma_i32_16x16x32_i8 v[144:147], a[114:115], a[82:83], v[144:147]// 00000000A5A0: D3D70090 1E42A572
	v_mfma_i32_16x16x32_i8 v[144:147], a[116:117], a[84:85], v[144:147]// 00000000A5A8: D3D70090 1E42A974
	ds_read_b128 a[48:51], v2 offset:32000                     // 00000000A5B0: DBFE7D00 30000002
	ds_read_b128 a[52:55], v2 offset:32064                     // 00000000A5B8: DBFE7D40 34000002
	v_mfma_i32_16x16x32_i8 v[144:147], a[118:119], a[86:87], v[144:147]// 00000000A5C0: D3D70090 1E42AD76
	v_mfma_i32_16x16x32_i8 v[172:175], a[120:121], a[80:81], v[172:175]// 00000000A5C8: D3D700AC 1EB2A178
	v_mfma_i32_16x16x32_i8 v[172:175], a[122:123], a[82:83], v[172:175]// 00000000A5D0: D3D700AC 1EB2A57A
	v_mfma_i32_16x16x32_i8 v[172:175], a[124:125], a[84:85], v[172:175]// 00000000A5D8: D3D700AC 1EB2A97C
	v_mfma_i32_16x16x32_i8 v[172:175], a[126:127], a[86:87], v[172:175]// 00000000A5E0: D3D700AC 1EB2AD7E
	v_mfma_i32_16x16x32_i8 v[148:151], a[112:113], a[88:89], v[148:151]// 00000000A5E8: D3D70094 1E52B170
	v_mfma_i32_16x16x32_i8 v[148:151], a[114:115], a[90:91], v[148:151]// 00000000A5F0: D3D70094 1E52B572
	v_mfma_i32_16x16x32_i8 v[148:151], a[116:117], a[92:93], v[148:151]// 00000000A5F8: D3D70094 1E52B974
	v_mfma_i32_16x16x32_i8 v[148:151], a[118:119], a[94:95], v[148:151]// 00000000A600: D3D70094 1E52BD76
	v_mfma_i32_16x16x32_i8 v[176:179], a[120:121], a[88:89], v[176:179]// 00000000A608: D3D700B0 1EC2B178
	v_mfma_i32_16x16x32_i8 v[176:179], a[122:123], a[90:91], v[176:179]// 00000000A610: D3D700B0 1EC2B57A
	v_mfma_i32_16x16x32_i8 v[176:179], a[124:125], a[92:93], v[176:179]// 00000000A618: D3D700B0 1EC2B97C
	v_mfma_i32_16x16x32_i8 v[176:179], a[126:127], a[94:95], v[176:179]// 00000000A620: D3D700B0 1EC2BD7E
	v_mfma_i32_16x16x32_i8 v[152:155], a[112:113], a[96:97], v[152:155]// 00000000A628: D3D70098 1E62C170
	v_mfma_i32_16x16x32_i8 v[152:155], a[114:115], a[98:99], v[152:155]// 00000000A630: D3D70098 1E62C572
	v_mfma_i32_16x16x32_i8 v[152:155], a[116:117], a[100:101], v[152:155]// 00000000A638: D3D70098 1E62C974
	v_mfma_i32_16x16x32_i8 v[152:155], a[118:119], a[102:103], v[152:155]// 00000000A640: D3D70098 1E62CD76
	v_mfma_i32_16x16x32_i8 v[180:183], a[120:121], a[96:97], v[180:183]// 00000000A648: D3D700B4 1ED2C178
	v_mfma_i32_16x16x32_i8 v[180:183], a[122:123], a[98:99], v[180:183]// 00000000A650: D3D700B4 1ED2C57A
	v_mfma_i32_16x16x32_i8 v[180:183], a[124:125], a[100:101], v[180:183]// 00000000A658: D3D700B4 1ED2C97C
	v_mfma_i32_16x16x32_i8 v[180:183], a[126:127], a[102:103], v[180:183]// 00000000A660: D3D700B4 1ED2CD7E
	v_mfma_i32_16x16x32_i8 v[156:159], a[112:113], a[104:105], v[156:159]// 00000000A668: D3D7009C 1E72D170
	s_add_u32 s60, 0x180, s80                                  // 00000000A670: 803C50FF 00000180
	s_cmp_lt_u32 s60, s81                                      // 00000000A678: BF0A513C
	s_cselect_b32 s57, s57, 0                                  // 00000000A67C: 85398039
	v_mfma_i32_16x16x32_i8 v[156:159], a[114:115], a[106:107], v[156:159]// 00000000A680: D3D7009C 1E72D572
	s_add_u32 s60, 0x100, s80                                  // 00000000A688: 803C50FF 00000100
	s_cmp_lt_u32 s60, s81                                      // 00000000A690: BF0A513C
	s_cselect_b32 s58, s58, 0                                  // 00000000A694: 853A803A
	v_mfma_i32_16x16x32_i8 v[156:159], a[116:117], a[108:109], v[156:159]// 00000000A698: D3D7009C 1E72D974
	s_add_u32 s60, 0x100, s80                                  // 00000000A6A0: 803C50FF 00000100
	s_cmp_lt_u32 s60, s81                                      // 00000000A6A8: BF0A513C
	s_cselect_b32 s83, s83, 0                                  // 00000000A6AC: 85538053
	v_mfma_i32_16x16x32_i8 v[156:159], a[118:119], a[110:111], v[156:159]// 00000000A6B0: D3D7009C 1E72DD76
	s_add_u32 s24, s58, s24                                    // 00000000A6B8: 8018183A
	s_addc_u32 s25, 0, s25                                     // 00000000A6BC: 82191980
	v_mfma_i32_16x16x32_i8 v[184:187], a[120:121], a[104:105], v[184:187]// 00000000A6C0: D3D700B8 1EE2D178
	s_add_u32 s20, s57, s20                                    // 00000000A6C8: 80141439
	s_addc_u32 s21, 0, s21                                     // 00000000A6CC: 82151580
	v_mfma_i32_16x16x32_i8 v[184:187], a[122:123], a[106:107], v[184:187]// 00000000A6D0: D3D700B8 1EE2D57A
	s_add_u32 s84, s83, s84                                    // 00000000A6D8: 80545453
	s_addc_u32 s85, 0, s85                                     // 00000000A6DC: 82555580
	v_mfma_i32_16x16x32_i8 v[184:187], a[124:125], a[108:109], v[184:187]// 00000000A6E0: D3D700B8 1EE2D97C
	v_mfma_i32_16x16x32_i8 v[184:187], a[126:127], a[110:111], v[184:187]// 00000000A6E8: D3D700B8 1EE2DD7E
	s_addk_i32 s80, 0x80                                       // 00000000A6F0: B7500080
	s_cmp_lt_i32 s80, s81                                      // 00000000A6F4: BF045150
	s_cbranch_scc0 label_24AF                                  // 00000000A6F8: BF84056D
	s_waitcnt vmcnt(18) lgkmcnt(0)                             // 00000000A6FC: BF8C4072
	v_mfma_i32_16x16x32_i8 v[76:79], a[128:129], a[0:1], v[76:79]// 00000000A700: D3D7004C 1D320180
	buffer_load_dwordx4 a[112:115], v72, s[24:27], 0 offen     // 00000000A708: E05C1000 80867048
	v_mfma_i32_16x16x32_i8 v[76:79], a[130:131], a[2:3], v[76:79]// 00000000A710: D3D7004C 1D320582
	v_mfma_i32_16x16x32_i8 v[76:79], a[132:133], a[4:5], v[76:79]// 00000000A718: D3D7004C 1D320984
	v_mfma_i32_16x16x32_i8 v[76:79], a[134:135], a[6:7], v[76:79]// 00000000A720: D3D7004C 1D320D86
	v_mfma_i32_16x16x32_i8 v[104:107], a[136:137], a[0:1], v[104:107]// 00000000A728: D3D70068 1DA20188
	buffer_load_dwordx4 a[116:119], v72, s[24:27], 0 offen offset:1024// 00000000A730: E05C1400 80867448
	v_mfma_i32_16x16x32_i8 v[104:107], a[138:139], a[2:3], v[104:107]// 00000000A738: D3D70068 1DA2058A
	v_mfma_i32_16x16x32_i8 v[104:107], a[140:141], a[4:5], v[104:107]// 00000000A740: D3D70068 1DA2098C
	v_mfma_i32_16x16x32_i8 v[104:107], a[142:143], a[6:7], v[104:107]// 00000000A748: D3D70068 1DA20D8E
	v_mfma_i32_16x16x32_i8 v[80:83], a[128:129], a[8:9], v[80:83]// 00000000A750: D3D70050 1D421180
	buffer_load_dwordx4 a[120:123], v73, s[24:27], 0 offen     // 00000000A758: E05C1000 80867849
	v_mfma_i32_16x16x32_i8 v[80:83], a[130:131], a[10:11], v[80:83]// 00000000A760: D3D70050 1D421582
	v_mfma_i32_16x16x32_i8 v[80:83], a[132:133], a[12:13], v[80:83]// 00000000A768: D3D70050 1D421984
	v_mfma_i32_16x16x32_i8 v[80:83], a[134:135], a[14:15], v[80:83]// 00000000A770: D3D70050 1D421D86
	v_mfma_i32_16x16x32_i8 v[108:111], a[136:137], a[8:9], v[108:111]// 00000000A778: D3D7006C 1DB21188
	buffer_load_dwordx4 a[124:127], v73, s[24:27], 0 offen offset:1024// 00000000A780: E05C1400 80867C49
	buffer_load_dword v58, s[20:23], 0 offen lds               // 00000000A788: E0511000 8005003A
	s_add_u32 m0, 0x100, s49                                   // 00000000A790: 807C31FF 00000100
	v_mfma_i32_16x16x32_i8 v[108:111], a[138:139], a[10:11], v[108:111]// 00000000A798: D3D7006C 1DB2158A
	v_mfma_i32_16x16x32_i8 v[108:111], a[140:141], a[12:13], v[108:111]// 00000000A7A0: D3D7006C 1DB2198C
	buffer_load_dword v59, s[20:23], 0 offen lds               // 00000000A7A8: E0511000 8005003B
	s_add_u32 m0, 0x200, s49                                   // 00000000A7B0: 807C31FF 00000200
	v_mfma_i32_16x16x32_i8 v[108:111], a[142:143], a[14:15], v[108:111]// 00000000A7B8: D3D7006C 1DB21D8E
	v_mfma_i32_16x16x32_i8 v[84:87], a[128:129], a[16:17], v[84:87]// 00000000A7C0: D3D70054 1D522180
	buffer_load_dword v60, s[20:23], 0 offen lds               // 00000000A7C8: E0511000 8005003C
	s_add_u32 m0, 0x300, s49                                   // 00000000A7D0: 807C31FF 00000300
	v_mfma_i32_16x16x32_i8 v[84:87], a[130:131], a[18:19], v[84:87]// 00000000A7D8: D3D70054 1D522582
	v_mfma_i32_16x16x32_i8 v[84:87], a[132:133], a[20:21], v[84:87]// 00000000A7E0: D3D70054 1D522984
	buffer_load_dword v61, s[20:23], 0 offen lds               // 00000000A7E8: E0511000 8005003D
	s_add_u32 m0, 0x400, s49                                   // 00000000A7F0: 807C31FF 00000400
	v_mfma_i32_16x16x32_i8 v[84:87], a[134:135], a[22:23], v[84:87]// 00000000A7F8: D3D70054 1D522D86
	v_mfma_i32_16x16x32_i8 v[112:115], a[136:137], a[16:17], v[112:115]// 00000000A800: D3D70070 1DC22188
	buffer_load_dword v62, s[20:23], 0 offen lds               // 00000000A808: E0511000 8005003E
	s_add_u32 m0, 0x500, s49                                   // 00000000A810: 807C31FF 00000500
	v_mfma_i32_16x16x32_i8 v[112:115], a[138:139], a[18:19], v[112:115]// 00000000A818: D3D70070 1DC2258A
	v_mfma_i32_16x16x32_i8 v[112:115], a[140:141], a[20:21], v[112:115]// 00000000A820: D3D70070 1DC2298C
	buffer_load_dword v63, s[20:23], 0 offen lds               // 00000000A828: E0511000 8005003F
	s_add_u32 m0, 0x600, s49                                   // 00000000A830: 807C31FF 00000600
	v_mfma_i32_16x16x32_i8 v[112:115], a[142:143], a[22:23], v[112:115]// 00000000A838: D3D70070 1DC22D8E
	v_mfma_i32_16x16x32_i8 v[88:91], a[128:129], a[24:25], v[88:91]// 00000000A840: D3D70058 1D623180
	buffer_load_dword v64, s[20:23], 0 offen lds               // 00000000A848: E0511000 80050040
	s_add_u32 m0, 0x700, s49                                   // 00000000A850: 807C31FF 00000700
	v_mfma_i32_16x16x32_i8 v[88:91], a[130:131], a[26:27], v[88:91]// 00000000A858: D3D70058 1D623582
	v_mfma_i32_16x16x32_i8 v[88:91], a[132:133], a[28:29], v[88:91]// 00000000A860: D3D70058 1D623984
	buffer_load_dword v65, s[20:23], 0 offen lds               // 00000000A868: E0511000 80050041
	s_add_u32 m0, 0x800, s49                                   // 00000000A870: 807C31FF 00000800
	v_mfma_i32_16x16x32_i8 v[88:91], a[134:135], a[30:31], v[88:91]// 00000000A878: D3D70058 1D623D86
	v_mfma_i32_16x16x32_i8 v[116:119], a[136:137], a[24:25], v[116:119]// 00000000A880: D3D70074 1DD23188
	buffer_load_dword v66, s[20:23], 0 offen lds               // 00000000A888: E0511000 80050042
	s_add_u32 m0, 0x900, s49                                   // 00000000A890: 807C31FF 00000900
	v_mfma_i32_16x16x32_i8 v[116:119], a[138:139], a[26:27], v[116:119]// 00000000A898: D3D70074 1DD2358A
	v_mfma_i32_16x16x32_i8 v[116:119], a[140:141], a[28:29], v[116:119]// 00000000A8A0: D3D70074 1DD2398C
	buffer_load_dword v67, s[20:23], 0 offen lds               // 00000000A8A8: E0511000 80050043
	s_add_u32 m0, 0xa00, s49                                   // 00000000A8B0: 807C31FF 00000A00
	v_mfma_i32_16x16x32_i8 v[116:119], a[142:143], a[30:31], v[116:119]// 00000000A8B8: D3D70074 1DD23D8E
	v_mfma_i32_16x16x32_i8 v[92:95], a[128:129], a[32:33], v[92:95]// 00000000A8C0: D3D7005C 1D724180
	buffer_load_dword v68, s[20:23], 0 offen lds               // 00000000A8C8: E0511000 80050044
	s_add_u32 m0, 0xb00, s49                                   // 00000000A8D0: 807C31FF 00000B00
	v_mfma_i32_16x16x32_i8 v[92:95], a[130:131], a[34:35], v[92:95]// 00000000A8D8: D3D7005C 1D724582
	v_mfma_i32_16x16x32_i8 v[92:95], a[132:133], a[36:37], v[92:95]// 00000000A8E0: D3D7005C 1D724984
	buffer_load_dword v69, s[20:23], 0 offen lds               // 00000000A8E8: E0511000 80050045
	s_add_u32 m0, 0xc00, s49                                   // 00000000A8F0: 807C31FF 00000C00
	v_mfma_i32_16x16x32_i8 v[92:95], a[134:135], a[38:39], v[92:95]// 00000000A8F8: D3D7005C 1D724D86
	v_mfma_i32_16x16x32_i8 v[120:123], a[136:137], a[32:33], v[120:123]// 00000000A900: D3D70078 1DE24188
	buffer_load_dword v70, s[20:23], 0 offen lds               // 00000000A908: E0511000 80050046
	s_add_u32 m0, 0xd00, s49                                   // 00000000A910: 807C31FF 00000D00
	v_mfma_i32_16x16x32_i8 v[120:123], a[138:139], a[34:35], v[120:123]// 00000000A918: D3D70078 1DE2458A
	v_mfma_i32_16x16x32_i8 v[120:123], a[140:141], a[36:37], v[120:123]// 00000000A920: D3D70078 1DE2498C
	buffer_load_dword v71, s[20:23], 0 offen lds               // 00000000A928: E0511000 80050047
	s_add_u32 m0, 0, s50                                       // 00000000A930: 807C3280
	v_mfma_i32_16x16x32_i8 v[120:123], a[142:143], a[38:39], v[120:123]// 00000000A934: D3D70078 1DE24D8E
	v_mfma_i32_16x16x32_i8 v[96:99], a[128:129], a[40:41], v[96:99]// 00000000A93C: D3D70060 1D825180
	v_mfma_i32_16x16x32_i8 v[96:99], a[130:131], a[42:43], v[96:99]// 00000000A944: D3D70060 1D825582
	v_mfma_i32_16x16x32_i8 v[96:99], a[132:133], a[44:45], v[96:99]// 00000000A94C: D3D70060 1D825984
	v_mfma_i32_16x16x32_i8 v[96:99], a[134:135], a[46:47], v[96:99]// 00000000A954: D3D70060 1D825D86
	v_mfma_i32_16x16x32_i8 v[124:127], a[136:137], a[40:41], v[124:127]// 00000000A95C: D3D7007C 1DF25188
	v_mfma_i32_16x16x32_i8 v[124:127], a[138:139], a[42:43], v[124:127]// 00000000A964: D3D7007C 1DF2558A
	v_mfma_i32_16x16x32_i8 v[124:127], a[140:141], a[44:45], v[124:127]// 00000000A96C: D3D7007C 1DF2598C
	v_mfma_i32_16x16x32_i8 v[124:127], a[142:143], a[46:47], v[124:127]// 00000000A974: D3D7007C 1DF25D8E
	v_mfma_i32_16x16x32_i8 v[100:103], a[128:129], a[48:49], v[100:103]// 00000000A97C: D3D70064 1D926180
	v_mfma_i32_16x16x32_i8 v[100:103], a[130:131], a[50:51], v[100:103]// 00000000A984: D3D70064 1D926582
	v_mfma_i32_16x16x32_i8 v[100:103], a[132:133], a[52:53], v[100:103]// 00000000A98C: D3D70064 1D926984
	v_mfma_i32_16x16x32_i8 v[100:103], a[134:135], a[54:55], v[100:103]// 00000000A994: D3D70064 1D926D86
	v_mfma_i32_16x16x32_i8 v[128:131], a[136:137], a[48:49], v[128:131]// 00000000A99C: D3D70080 1E026188
	v_mfma_i32_16x16x32_i8 v[128:131], a[138:139], a[50:51], v[128:131]// 00000000A9A4: D3D70080 1E02658A
	v_mfma_i32_16x16x32_i8 v[128:131], a[140:141], a[52:53], v[128:131]// 00000000A9AC: D3D70080 1E02698C
	v_mfma_i32_16x16x32_i8 v[128:131], a[142:143], a[54:55], v[128:131]// 00000000A9B4: D3D70080 1E026D8E
	s_waitcnt vmcnt(18)                                        // 00000000A9BC: BF8C4F72
	s_barrier                                                  // 00000000A9C0: BF8A0000
	v_mfma_i32_16x16x32_i8 v[132:135], a[144:145], a[0:1], v[132:135]// 00000000A9C4: D3D70084 1E120190
	buffer_load_dwordx4 a[128:131], v72, s[84:87], 0 offen     // 00000000A9CC: E05C1000 80958048
	v_mfma_i32_16x16x32_i8 v[132:135], a[146:147], a[2:3], v[132:135]// 00000000A9D4: D3D70084 1E120592
	v_mfma_i32_16x16x32_i8 v[132:135], a[148:149], a[4:5], v[132:135]// 00000000A9DC: D3D70084 1E120994
	ds_read_b128 a[56:59], v2                                  // 00000000A9E4: DBFE0000 38000002
	ds_read_b128 a[60:63], v2 offset:64                        // 00000000A9EC: DBFE0040 3C000002
	v_mfma_i32_16x16x32_i8 v[132:135], a[150:151], a[6:7], v[132:135]// 00000000A9F4: D3D70084 1E120D96
	v_mfma_i32_16x16x32_i8 v[160:163], a[152:153], a[0:1], v[160:163]// 00000000A9FC: D3D700A0 1E820198
	buffer_load_dwordx4 a[132:135], v72, s[84:87], 0 offen offset:1024// 00000000AA04: E05C1400 80958448
	v_mfma_i32_16x16x32_i8 v[160:163], a[154:155], a[2:3], v[160:163]// 00000000AA0C: D3D700A0 1E82059A
	v_mfma_i32_16x16x32_i8 v[160:163], a[156:157], a[4:5], v[160:163]// 00000000AA14: D3D700A0 1E82099C
	ds_read_b128 a[64:67], v2 offset:512                       // 00000000AA1C: DBFE0200 40000002
	ds_read_b128 a[68:71], v2 offset:576                       // 00000000AA24: DBFE0240 44000002
	v_mfma_i32_16x16x32_i8 v[160:163], a[158:159], a[6:7], v[160:163]// 00000000AA2C: D3D700A0 1E820D9E
	v_mfma_i32_16x16x32_i8 v[136:139], a[144:145], a[8:9], v[136:139]// 00000000AA34: D3D70088 1E221190
	buffer_load_dwordx4 a[136:139], v73, s[84:87], 0 offen     // 00000000AA3C: E05C1000 80958849
	v_mfma_i32_16x16x32_i8 v[136:139], a[146:147], a[10:11], v[136:139]// 00000000AA44: D3D70088 1E221592
	v_mfma_i32_16x16x32_i8 v[136:139], a[148:149], a[12:13], v[136:139]// 00000000AA4C: D3D70088 1E221994
	ds_read_b128 a[72:75], v2 offset:1024                      // 00000000AA54: DBFE0400 48000002
	ds_read_b128 a[76:79], v2 offset:1088                      // 00000000AA5C: DBFE0440 4C000002
	v_mfma_i32_16x16x32_i8 v[136:139], a[150:151], a[14:15], v[136:139]// 00000000AA64: D3D70088 1E221D96
	v_mfma_i32_16x16x32_i8 v[164:167], a[152:153], a[8:9], v[164:167]// 00000000AA6C: D3D700A4 1E921198
	buffer_load_dwordx4 a[140:143], v73, s[84:87], 0 offen offset:1024// 00000000AA74: E05C1400 80958C49
	v_mfma_i32_16x16x32_i8 v[164:167], a[154:155], a[10:11], v[164:167]// 00000000AA7C: D3D700A4 1E92159A
	v_mfma_i32_16x16x32_i8 v[164:167], a[156:157], a[12:13], v[164:167]// 00000000AA84: D3D700A4 1E92199C
	ds_read_b128 a[80:83], v2 offset:1536                      // 00000000AA8C: DBFE0600 50000002
	ds_read_b128 a[84:87], v2 offset:1600                      // 00000000AA94: DBFE0640 54000002
	v_mfma_i32_16x16x32_i8 v[164:167], a[158:159], a[14:15], v[164:167]// 00000000AA9C: D3D700A4 1E921D9E
	v_mfma_i32_16x16x32_i8 v[140:143], a[144:145], a[16:17], v[140:143]// 00000000AAA4: D3D7008C 1E322190
	v_mfma_i32_16x16x32_i8 v[140:143], a[146:147], a[18:19], v[140:143]// 00000000AAAC: D3D7008C 1E322592
	v_mfma_i32_16x16x32_i8 v[140:143], a[148:149], a[20:21], v[140:143]// 00000000AAB4: D3D7008C 1E322994
	ds_read_b128 a[88:91], v2 offset:2048                      // 00000000AABC: DBFE0800 58000002
	ds_read_b128 a[92:95], v2 offset:2112                      // 00000000AAC4: DBFE0840 5C000002
	v_mfma_i32_16x16x32_i8 v[140:143], a[150:151], a[22:23], v[140:143]// 00000000AACC: D3D7008C 1E322D96
	v_mfma_i32_16x16x32_i8 v[168:171], a[152:153], a[16:17], v[168:171]// 00000000AAD4: D3D700A8 1EA22198
	v_mfma_i32_16x16x32_i8 v[168:171], a[154:155], a[18:19], v[168:171]// 00000000AADC: D3D700A8 1EA2259A
	v_mfma_i32_16x16x32_i8 v[168:171], a[156:157], a[20:21], v[168:171]// 00000000AAE4: D3D700A8 1EA2299C
	ds_read_b128 a[96:99], v2 offset:2560                      // 00000000AAEC: DBFE0A00 60000002
	ds_read_b128 a[100:103], v2 offset:2624                    // 00000000AAF4: DBFE0A40 64000002
	v_mfma_i32_16x16x32_i8 v[168:171], a[158:159], a[22:23], v[168:171]// 00000000AAFC: D3D700A8 1EA22D9E
	v_mfma_i32_16x16x32_i8 v[144:147], a[144:145], a[24:25], v[144:147]// 00000000AB04: D3D70090 1E423190
	v_mfma_i32_16x16x32_i8 v[144:147], a[146:147], a[26:27], v[144:147]// 00000000AB0C: D3D70090 1E423592
	v_mfma_i32_16x16x32_i8 v[144:147], a[148:149], a[28:29], v[144:147]// 00000000AB14: D3D70090 1E423994
	ds_read_b128 a[104:107], v2 offset:3072                    // 00000000AB1C: DBFE0C00 68000002
	ds_read_b128 a[108:111], v2 offset:3136                    // 00000000AB24: DBFE0C40 6C000002
	v_mfma_i32_16x16x32_i8 v[144:147], a[150:151], a[30:31], v[144:147]// 00000000AB2C: D3D70090 1E423D96
	v_mfma_i32_16x16x32_i8 v[172:175], a[152:153], a[24:25], v[172:175]// 00000000AB34: D3D700AC 1EB23198
	v_mfma_i32_16x16x32_i8 v[172:175], a[154:155], a[26:27], v[172:175]// 00000000AB3C: D3D700AC 1EB2359A
	v_mfma_i32_16x16x32_i8 v[172:175], a[156:157], a[28:29], v[172:175]// 00000000AB44: D3D700AC 1EB2399C
	v_mfma_i32_16x16x32_i8 v[172:175], a[158:159], a[30:31], v[172:175]// 00000000AB4C: D3D700AC 1EB23D9E
	v_mfma_i32_16x16x32_i8 v[148:151], a[144:145], a[32:33], v[148:151]// 00000000AB54: D3D70094 1E524190
	v_mfma_i32_16x16x32_i8 v[148:151], a[146:147], a[34:35], v[148:151]// 00000000AB5C: D3D70094 1E524592
	v_mfma_i32_16x16x32_i8 v[148:151], a[148:149], a[36:37], v[148:151]// 00000000AB64: D3D70094 1E524994
	v_mfma_i32_16x16x32_i8 v[148:151], a[150:151], a[38:39], v[148:151]// 00000000AB6C: D3D70094 1E524D96
	v_mfma_i32_16x16x32_i8 v[176:179], a[152:153], a[32:33], v[176:179]// 00000000AB74: D3D700B0 1EC24198
	v_mfma_i32_16x16x32_i8 v[176:179], a[154:155], a[34:35], v[176:179]// 00000000AB7C: D3D700B0 1EC2459A
	v_mfma_i32_16x16x32_i8 v[176:179], a[156:157], a[36:37], v[176:179]// 00000000AB84: D3D700B0 1EC2499C
	v_mfma_i32_16x16x32_i8 v[176:179], a[158:159], a[38:39], v[176:179]// 00000000AB8C: D3D700B0 1EC24D9E
	v_mfma_i32_16x16x32_i8 v[152:155], a[144:145], a[40:41], v[152:155]// 00000000AB94: D3D70098 1E625190
	v_mfma_i32_16x16x32_i8 v[152:155], a[146:147], a[42:43], v[152:155]// 00000000AB9C: D3D70098 1E625592
	v_mfma_i32_16x16x32_i8 v[152:155], a[148:149], a[44:45], v[152:155]// 00000000ABA4: D3D70098 1E625994
	v_mfma_i32_16x16x32_i8 v[152:155], a[150:151], a[46:47], v[152:155]// 00000000ABAC: D3D70098 1E625D96
	v_mfma_i32_16x16x32_i8 v[180:183], a[152:153], a[40:41], v[180:183]// 00000000ABB4: D3D700B4 1ED25198
	v_mfma_i32_16x16x32_i8 v[180:183], a[154:155], a[42:43], v[180:183]// 00000000ABBC: D3D700B4 1ED2559A
	v_mfma_i32_16x16x32_i8 v[180:183], a[156:157], a[44:45], v[180:183]// 00000000ABC4: D3D700B4 1ED2599C
	v_mfma_i32_16x16x32_i8 v[180:183], a[158:159], a[46:47], v[180:183]// 00000000ABCC: D3D700B4 1ED25D9E
	v_mfma_i32_16x16x32_i8 v[156:159], a[144:145], a[48:49], v[156:159]// 00000000ABD4: D3D7009C 1E726190
	s_add_u32 s60, 0x180, s80                                  // 00000000ABDC: 803C50FF 00000180
	s_cmp_lt_u32 s60, s81                                      // 00000000ABE4: BF0A513C
	s_cselect_b32 s57, s57, 0                                  // 00000000ABE8: 85398039
	v_mfma_i32_16x16x32_i8 v[156:159], a[146:147], a[50:51], v[156:159]// 00000000ABEC: D3D7009C 1E726592
	s_add_u32 s60, 0x100, s80                                  // 00000000ABF4: 803C50FF 00000100
	s_cmp_lt_u32 s60, s81                                      // 00000000ABFC: BF0A513C
	s_cselect_b32 s58, s58, 0                                  // 00000000AC00: 853A803A
	v_mfma_i32_16x16x32_i8 v[156:159], a[148:149], a[52:53], v[156:159]// 00000000AC04: D3D7009C 1E726994
	s_add_u32 s60, 0x100, s80                                  // 00000000AC0C: 803C50FF 00000100
	s_cmp_lt_u32 s60, s81                                      // 00000000AC14: BF0A513C
	s_cselect_b32 s83, s83, 0                                  // 00000000AC18: 85538053
	v_mfma_i32_16x16x32_i8 v[156:159], a[150:151], a[54:55], v[156:159]// 00000000AC1C: D3D7009C 1E726D96
	s_add_u32 s24, s58, s24                                    // 00000000AC24: 8018183A
	s_addc_u32 s25, 0, s25                                     // 00000000AC28: 82191980
	v_mfma_i32_16x16x32_i8 v[184:187], a[152:153], a[48:49], v[184:187]// 00000000AC2C: D3D700B8 1EE26198
	s_add_u32 s20, s57, s20                                    // 00000000AC34: 80141439
	s_addc_u32 s21, 0, s21                                     // 00000000AC38: 82151580
	v_mfma_i32_16x16x32_i8 v[184:187], a[154:155], a[50:51], v[184:187]// 00000000AC3C: D3D700B8 1EE2659A
	s_add_u32 s84, s83, s84                                    // 00000000AC44: 80545453
	s_addc_u32 s85, 0, s85                                     // 00000000AC48: 82555580
	v_mfma_i32_16x16x32_i8 v[184:187], a[156:157], a[52:53], v[184:187]// 00000000AC4C: D3D700B8 1EE2699C
	v_mfma_i32_16x16x32_i8 v[184:187], a[158:159], a[54:55], v[184:187]// 00000000AC54: D3D700B8 1EE26D9E
	s_addk_i32 s80, 0x80                                       // 00000000AC5C: B7500080
	s_cmp_lt_i32 s80, s81                                      // 00000000AC60: BF045150
	s_cbranch_scc0 label_24AF                                  // 00000000AC64: BF840412
	s_waitcnt vmcnt(18) lgkmcnt(0)                             // 00000000AC68: BF8C4072
	v_mfma_i32_16x16x32_i8 v[76:79], a[112:113], a[56:57], v[76:79]// 00000000AC6C: D3D7004C 1D327170
	buffer_load_dwordx4 a[144:147], v72, s[24:27], 0 offen     // 00000000AC74: E05C1000 80869048
	v_mfma_i32_16x16x32_i8 v[76:79], a[114:115], a[58:59], v[76:79]// 00000000AC7C: D3D7004C 1D327572
	v_mfma_i32_16x16x32_i8 v[76:79], a[116:117], a[60:61], v[76:79]// 00000000AC84: D3D7004C 1D327974
	v_mfma_i32_16x16x32_i8 v[76:79], a[118:119], a[62:63], v[76:79]// 00000000AC8C: D3D7004C 1D327D76
	v_mfma_i32_16x16x32_i8 v[104:107], a[120:121], a[56:57], v[104:107]// 00000000AC94: D3D70068 1DA27178
	buffer_load_dwordx4 a[148:151], v72, s[24:27], 0 offen offset:1024// 00000000AC9C: E05C1400 80869448
	v_mfma_i32_16x16x32_i8 v[104:107], a[122:123], a[58:59], v[104:107]// 00000000ACA4: D3D70068 1DA2757A
	v_mfma_i32_16x16x32_i8 v[104:107], a[124:125], a[60:61], v[104:107]// 00000000ACAC: D3D70068 1DA2797C
	v_mfma_i32_16x16x32_i8 v[104:107], a[126:127], a[62:63], v[104:107]// 00000000ACB4: D3D70068 1DA27D7E
	v_mfma_i32_16x16x32_i8 v[80:83], a[112:113], a[64:65], v[80:83]// 00000000ACBC: D3D70050 1D428170
	buffer_load_dwordx4 a[152:155], v73, s[24:27], 0 offen     // 00000000ACC4: E05C1000 80869849
	v_mfma_i32_16x16x32_i8 v[80:83], a[114:115], a[66:67], v[80:83]// 00000000ACCC: D3D70050 1D428572
	v_mfma_i32_16x16x32_i8 v[80:83], a[116:117], a[68:69], v[80:83]// 00000000ACD4: D3D70050 1D428974
	v_mfma_i32_16x16x32_i8 v[80:83], a[118:119], a[70:71], v[80:83]// 00000000ACDC: D3D70050 1D428D76
	v_mfma_i32_16x16x32_i8 v[108:111], a[120:121], a[64:65], v[108:111]// 00000000ACE4: D3D7006C 1DB28178
	buffer_load_dwordx4 a[156:159], v73, s[24:27], 0 offen offset:1024// 00000000ACEC: E05C1400 80869C49
	buffer_load_dword v58, s[20:23], 0 offen lds               // 00000000ACF4: E0511000 8005003A
	s_add_u32 m0, 0x100, s50                                   // 00000000ACFC: 807C32FF 00000100
	v_mfma_i32_16x16x32_i8 v[108:111], a[122:123], a[66:67], v[108:111]// 00000000AD04: D3D7006C 1DB2857A
	v_mfma_i32_16x16x32_i8 v[108:111], a[124:125], a[68:69], v[108:111]// 00000000AD0C: D3D7006C 1DB2897C
	buffer_load_dword v59, s[20:23], 0 offen lds               // 00000000AD14: E0511000 8005003B
	s_add_u32 m0, 0x200, s50                                   // 00000000AD1C: 807C32FF 00000200
	v_mfma_i32_16x16x32_i8 v[108:111], a[126:127], a[70:71], v[108:111]// 00000000AD24: D3D7006C 1DB28D7E
	v_mfma_i32_16x16x32_i8 v[84:87], a[112:113], a[72:73], v[84:87]// 00000000AD2C: D3D70054 1D529170
	buffer_load_dword v60, s[20:23], 0 offen lds               // 00000000AD34: E0511000 8005003C
	s_add_u32 m0, 0x300, s50                                   // 00000000AD3C: 807C32FF 00000300
	v_mfma_i32_16x16x32_i8 v[84:87], a[114:115], a[74:75], v[84:87]// 00000000AD44: D3D70054 1D529572
	v_mfma_i32_16x16x32_i8 v[84:87], a[116:117], a[76:77], v[84:87]// 00000000AD4C: D3D70054 1D529974
	buffer_load_dword v61, s[20:23], 0 offen lds               // 00000000AD54: E0511000 8005003D
	s_add_u32 m0, 0x400, s50                                   // 00000000AD5C: 807C32FF 00000400
	v_mfma_i32_16x16x32_i8 v[84:87], a[118:119], a[78:79], v[84:87]// 00000000AD64: D3D70054 1D529D76
	v_mfma_i32_16x16x32_i8 v[112:115], a[120:121], a[72:73], v[112:115]// 00000000AD6C: D3D70070 1DC29178
	buffer_load_dword v62, s[20:23], 0 offen lds               // 00000000AD74: E0511000 8005003E
	s_add_u32 m0, 0x500, s50                                   // 00000000AD7C: 807C32FF 00000500
	v_mfma_i32_16x16x32_i8 v[112:115], a[122:123], a[74:75], v[112:115]// 00000000AD84: D3D70070 1DC2957A
	v_mfma_i32_16x16x32_i8 v[112:115], a[124:125], a[76:77], v[112:115]// 00000000AD8C: D3D70070 1DC2997C
	buffer_load_dword v63, s[20:23], 0 offen lds               // 00000000AD94: E0511000 8005003F
	s_add_u32 m0, 0x600, s50                                   // 00000000AD9C: 807C32FF 00000600
	v_mfma_i32_16x16x32_i8 v[112:115], a[126:127], a[78:79], v[112:115]// 00000000ADA4: D3D70070 1DC29D7E
	v_mfma_i32_16x16x32_i8 v[88:91], a[112:113], a[80:81], v[88:91]// 00000000ADAC: D3D70058 1D62A170
	buffer_load_dword v64, s[20:23], 0 offen lds               // 00000000ADB4: E0511000 80050040
	s_add_u32 m0, 0x700, s50                                   // 00000000ADBC: 807C32FF 00000700
	v_mfma_i32_16x16x32_i8 v[88:91], a[114:115], a[82:83], v[88:91]// 00000000ADC4: D3D70058 1D62A572
	v_mfma_i32_16x16x32_i8 v[88:91], a[116:117], a[84:85], v[88:91]// 00000000ADCC: D3D70058 1D62A974
	buffer_load_dword v65, s[20:23], 0 offen lds               // 00000000ADD4: E0511000 80050041
	s_add_u32 m0, 0x800, s50                                   // 00000000ADDC: 807C32FF 00000800
	v_mfma_i32_16x16x32_i8 v[88:91], a[118:119], a[86:87], v[88:91]// 00000000ADE4: D3D70058 1D62AD76
	v_mfma_i32_16x16x32_i8 v[116:119], a[120:121], a[80:81], v[116:119]// 00000000ADEC: D3D70074 1DD2A178
	buffer_load_dword v66, s[20:23], 0 offen lds               // 00000000ADF4: E0511000 80050042
	s_add_u32 m0, 0x900, s50                                   // 00000000ADFC: 807C32FF 00000900
	v_mfma_i32_16x16x32_i8 v[116:119], a[122:123], a[82:83], v[116:119]// 00000000AE04: D3D70074 1DD2A57A
	v_mfma_i32_16x16x32_i8 v[116:119], a[124:125], a[84:85], v[116:119]// 00000000AE0C: D3D70074 1DD2A97C
	buffer_load_dword v67, s[20:23], 0 offen lds               // 00000000AE14: E0511000 80050043
	s_add_u32 m0, 0xa00, s50                                   // 00000000AE1C: 807C32FF 00000A00
	v_mfma_i32_16x16x32_i8 v[116:119], a[126:127], a[86:87], v[116:119]// 00000000AE24: D3D70074 1DD2AD7E
	v_mfma_i32_16x16x32_i8 v[92:95], a[112:113], a[88:89], v[92:95]// 00000000AE2C: D3D7005C 1D72B170
	buffer_load_dword v68, s[20:23], 0 offen lds               // 00000000AE34: E0511000 80050044
	s_add_u32 m0, 0xb00, s50                                   // 00000000AE3C: 807C32FF 00000B00
	v_mfma_i32_16x16x32_i8 v[92:95], a[114:115], a[90:91], v[92:95]// 00000000AE44: D3D7005C 1D72B572
	v_mfma_i32_16x16x32_i8 v[92:95], a[116:117], a[92:93], v[92:95]// 00000000AE4C: D3D7005C 1D72B974
	buffer_load_dword v69, s[20:23], 0 offen lds               // 00000000AE54: E0511000 80050045
	s_add_u32 m0, 0xc00, s50                                   // 00000000AE5C: 807C32FF 00000C00
	v_mfma_i32_16x16x32_i8 v[92:95], a[118:119], a[94:95], v[92:95]// 00000000AE64: D3D7005C 1D72BD76
	v_mfma_i32_16x16x32_i8 v[120:123], a[120:121], a[88:89], v[120:123]// 00000000AE6C: D3D70078 1DE2B178
	buffer_load_dword v70, s[20:23], 0 offen lds               // 00000000AE74: E0511000 80050046
	s_add_u32 m0, 0xd00, s50                                   // 00000000AE7C: 807C32FF 00000D00
	v_mfma_i32_16x16x32_i8 v[120:123], a[122:123], a[90:91], v[120:123]// 00000000AE84: D3D70078 1DE2B57A
	v_mfma_i32_16x16x32_i8 v[120:123], a[124:125], a[92:93], v[120:123]// 00000000AE8C: D3D70078 1DE2B97C
	buffer_load_dword v71, s[20:23], 0 offen lds               // 00000000AE94: E0511000 80050047
	s_add_u32 m0, 0, s48                                       // 00000000AE9C: 807C3080
	v_mfma_i32_16x16x32_i8 v[120:123], a[126:127], a[94:95], v[120:123]// 00000000AEA0: D3D70078 1DE2BD7E
	v_mfma_i32_16x16x32_i8 v[96:99], a[112:113], a[96:97], v[96:99]// 00000000AEA8: D3D70060 1D82C170
	v_mfma_i32_16x16x32_i8 v[96:99], a[114:115], a[98:99], v[96:99]// 00000000AEB0: D3D70060 1D82C572
	v_mfma_i32_16x16x32_i8 v[96:99], a[116:117], a[100:101], v[96:99]// 00000000AEB8: D3D70060 1D82C974
	v_mfma_i32_16x16x32_i8 v[96:99], a[118:119], a[102:103], v[96:99]// 00000000AEC0: D3D70060 1D82CD76
	v_mfma_i32_16x16x32_i8 v[124:127], a[120:121], a[96:97], v[124:127]// 00000000AEC8: D3D7007C 1DF2C178
	v_mfma_i32_16x16x32_i8 v[124:127], a[122:123], a[98:99], v[124:127]// 00000000AED0: D3D7007C 1DF2C57A
	v_mfma_i32_16x16x32_i8 v[124:127], a[124:125], a[100:101], v[124:127]// 00000000AED8: D3D7007C 1DF2C97C
	v_mfma_i32_16x16x32_i8 v[124:127], a[126:127], a[102:103], v[124:127]// 00000000AEE0: D3D7007C 1DF2CD7E
	v_mfma_i32_16x16x32_i8 v[100:103], a[112:113], a[104:105], v[100:103]// 00000000AEE8: D3D70064 1D92D170
	v_mfma_i32_16x16x32_i8 v[100:103], a[114:115], a[106:107], v[100:103]// 00000000AEF0: D3D70064 1D92D572
	v_mfma_i32_16x16x32_i8 v[100:103], a[116:117], a[108:109], v[100:103]// 00000000AEF8: D3D70064 1D92D974
	v_mfma_i32_16x16x32_i8 v[100:103], a[118:119], a[110:111], v[100:103]// 00000000AF00: D3D70064 1D92DD76
	v_mfma_i32_16x16x32_i8 v[128:131], a[120:121], a[104:105], v[128:131]// 00000000AF08: D3D70080 1E02D178
	v_mfma_i32_16x16x32_i8 v[128:131], a[122:123], a[106:107], v[128:131]// 00000000AF10: D3D70080 1E02D57A
	v_mfma_i32_16x16x32_i8 v[128:131], a[124:125], a[108:109], v[128:131]// 00000000AF18: D3D70080 1E02D97C
	v_mfma_i32_16x16x32_i8 v[128:131], a[126:127], a[110:111], v[128:131]// 00000000AF20: D3D70080 1E02DD7E
	s_waitcnt vmcnt(18)                                        // 00000000AF28: BF8C4F72
	s_barrier                                                  // 00000000AF2C: BF8A0000
	v_mfma_i32_16x16x32_i8 v[132:135], a[128:129], a[56:57], v[132:135]// 00000000AF30: D3D70084 1E127180
	buffer_load_dwordx4 a[112:115], v72, s[84:87], 0 offen     // 00000000AF38: E05C1000 80957048
	v_mfma_i32_16x16x32_i8 v[132:135], a[130:131], a[58:59], v[132:135]// 00000000AF40: D3D70084 1E127582
	v_mfma_i32_16x16x32_i8 v[132:135], a[132:133], a[60:61], v[132:135]// 00000000AF48: D3D70084 1E127984
	ds_read_b128 a[0:3], v2 offset:14464                       // 00000000AF50: DBFE3880 00000002
	ds_read_b128 a[4:7], v2 offset:14528                       // 00000000AF58: DBFE38C0 04000002
	v_mfma_i32_16x16x32_i8 v[132:135], a[134:135], a[62:63], v[132:135]// 00000000AF60: D3D70084 1E127D86
	v_mfma_i32_16x16x32_i8 v[160:163], a[136:137], a[56:57], v[160:163]// 00000000AF68: D3D700A0 1E827188
	buffer_load_dwordx4 a[116:119], v72, s[84:87], 0 offen offset:1024// 00000000AF70: E05C1400 80957448
	v_mfma_i32_16x16x32_i8 v[160:163], a[138:139], a[58:59], v[160:163]// 00000000AF78: D3D700A0 1E82758A
	v_mfma_i32_16x16x32_i8 v[160:163], a[140:141], a[60:61], v[160:163]// 00000000AF80: D3D700A0 1E82798C
	ds_read_b128 a[8:11], v2 offset:14976                      // 00000000AF88: DBFE3A80 08000002
	ds_read_b128 a[12:15], v2 offset:15040                     // 00000000AF90: DBFE3AC0 0C000002
	v_mfma_i32_16x16x32_i8 v[160:163], a[142:143], a[62:63], v[160:163]// 00000000AF98: D3D700A0 1E827D8E
	v_mfma_i32_16x16x32_i8 v[136:139], a[128:129], a[64:65], v[136:139]// 00000000AFA0: D3D70088 1E228180
	buffer_load_dwordx4 a[120:123], v73, s[84:87], 0 offen     // 00000000AFA8: E05C1000 80957849
	v_mfma_i32_16x16x32_i8 v[136:139], a[130:131], a[66:67], v[136:139]// 00000000AFB0: D3D70088 1E228582
	v_mfma_i32_16x16x32_i8 v[136:139], a[132:133], a[68:69], v[136:139]// 00000000AFB8: D3D70088 1E228984
	ds_read_b128 a[16:19], v2 offset:15488                     // 00000000AFC0: DBFE3C80 10000002
	ds_read_b128 a[20:23], v2 offset:15552                     // 00000000AFC8: DBFE3CC0 14000002
	v_mfma_i32_16x16x32_i8 v[136:139], a[134:135], a[70:71], v[136:139]// 00000000AFD0: D3D70088 1E228D86
	v_mfma_i32_16x16x32_i8 v[164:167], a[136:137], a[64:65], v[164:167]// 00000000AFD8: D3D700A4 1E928188
	buffer_load_dwordx4 a[124:127], v73, s[84:87], 0 offen offset:1024// 00000000AFE0: E05C1400 80957C49
	v_mfma_i32_16x16x32_i8 v[164:167], a[138:139], a[66:67], v[164:167]// 00000000AFE8: D3D700A4 1E92858A
	v_mfma_i32_16x16x32_i8 v[164:167], a[140:141], a[68:69], v[164:167]// 00000000AFF0: D3D700A4 1E92898C
	ds_read_b128 a[24:27], v2 offset:16000                     // 00000000AFF8: DBFE3E80 18000002
	ds_read_b128 a[28:31], v2 offset:16064                     // 00000000B000: DBFE3EC0 1C000002
	v_mfma_i32_16x16x32_i8 v[164:167], a[142:143], a[70:71], v[164:167]// 00000000B008: D3D700A4 1E928D8E
	v_mfma_i32_16x16x32_i8 v[140:143], a[128:129], a[72:73], v[140:143]// 00000000B010: D3D7008C 1E329180
	v_mfma_i32_16x16x32_i8 v[140:143], a[130:131], a[74:75], v[140:143]// 00000000B018: D3D7008C 1E329582
	v_mfma_i32_16x16x32_i8 v[140:143], a[132:133], a[76:77], v[140:143]// 00000000B020: D3D7008C 1E329984
	ds_read_b128 a[32:35], v2 offset:16512                     // 00000000B028: DBFE4080 20000002
	ds_read_b128 a[36:39], v2 offset:16576                     // 00000000B030: DBFE40C0 24000002
	v_mfma_i32_16x16x32_i8 v[140:143], a[134:135], a[78:79], v[140:143]// 00000000B038: D3D7008C 1E329D86
	v_mfma_i32_16x16x32_i8 v[168:171], a[136:137], a[72:73], v[168:171]// 00000000B040: D3D700A8 1EA29188
	v_mfma_i32_16x16x32_i8 v[168:171], a[138:139], a[74:75], v[168:171]// 00000000B048: D3D700A8 1EA2958A
	v_mfma_i32_16x16x32_i8 v[168:171], a[140:141], a[76:77], v[168:171]// 00000000B050: D3D700A8 1EA2998C
	ds_read_b128 a[40:43], v2 offset:17024                     // 00000000B058: DBFE4280 28000002
	ds_read_b128 a[44:47], v2 offset:17088                     // 00000000B060: DBFE42C0 2C000002
	v_mfma_i32_16x16x32_i8 v[168:171], a[142:143], a[78:79], v[168:171]// 00000000B068: D3D700A8 1EA29D8E
	v_mfma_i32_16x16x32_i8 v[144:147], a[128:129], a[80:81], v[144:147]// 00000000B070: D3D70090 1E42A180
	v_mfma_i32_16x16x32_i8 v[144:147], a[130:131], a[82:83], v[144:147]// 00000000B078: D3D70090 1E42A582
	v_mfma_i32_16x16x32_i8 v[144:147], a[132:133], a[84:85], v[144:147]// 00000000B080: D3D70090 1E42A984
	ds_read_b128 a[48:51], v2 offset:17536                     // 00000000B088: DBFE4480 30000002
	ds_read_b128 a[52:55], v2 offset:17600                     // 00000000B090: DBFE44C0 34000002
	v_mfma_i32_16x16x32_i8 v[144:147], a[134:135], a[86:87], v[144:147]// 00000000B098: D3D70090 1E42AD86
	v_mfma_i32_16x16x32_i8 v[172:175], a[136:137], a[80:81], v[172:175]// 00000000B0A0: D3D700AC 1EB2A188
	v_mfma_i32_16x16x32_i8 v[172:175], a[138:139], a[82:83], v[172:175]// 00000000B0A8: D3D700AC 1EB2A58A
	v_mfma_i32_16x16x32_i8 v[172:175], a[140:141], a[84:85], v[172:175]// 00000000B0B0: D3D700AC 1EB2A98C
	v_mfma_i32_16x16x32_i8 v[172:175], a[142:143], a[86:87], v[172:175]// 00000000B0B8: D3D700AC 1EB2AD8E
	v_mfma_i32_16x16x32_i8 v[148:151], a[128:129], a[88:89], v[148:151]// 00000000B0C0: D3D70094 1E52B180
	v_mfma_i32_16x16x32_i8 v[148:151], a[130:131], a[90:91], v[148:151]// 00000000B0C8: D3D70094 1E52B582
	v_mfma_i32_16x16x32_i8 v[148:151], a[132:133], a[92:93], v[148:151]// 00000000B0D0: D3D70094 1E52B984
	v_mfma_i32_16x16x32_i8 v[148:151], a[134:135], a[94:95], v[148:151]// 00000000B0D8: D3D70094 1E52BD86
	v_mfma_i32_16x16x32_i8 v[176:179], a[136:137], a[88:89], v[176:179]// 00000000B0E0: D3D700B0 1EC2B188
	v_mfma_i32_16x16x32_i8 v[176:179], a[138:139], a[90:91], v[176:179]// 00000000B0E8: D3D700B0 1EC2B58A
	v_mfma_i32_16x16x32_i8 v[176:179], a[140:141], a[92:93], v[176:179]// 00000000B0F0: D3D700B0 1EC2B98C
	v_mfma_i32_16x16x32_i8 v[176:179], a[142:143], a[94:95], v[176:179]// 00000000B0F8: D3D700B0 1EC2BD8E
	v_mfma_i32_16x16x32_i8 v[152:155], a[128:129], a[96:97], v[152:155]// 00000000B100: D3D70098 1E62C180
	v_mfma_i32_16x16x32_i8 v[152:155], a[130:131], a[98:99], v[152:155]// 00000000B108: D3D70098 1E62C582
	v_mfma_i32_16x16x32_i8 v[152:155], a[132:133], a[100:101], v[152:155]// 00000000B110: D3D70098 1E62C984
	v_mfma_i32_16x16x32_i8 v[152:155], a[134:135], a[102:103], v[152:155]// 00000000B118: D3D70098 1E62CD86
	v_mfma_i32_16x16x32_i8 v[180:183], a[136:137], a[96:97], v[180:183]// 00000000B120: D3D700B4 1ED2C188
	v_mfma_i32_16x16x32_i8 v[180:183], a[138:139], a[98:99], v[180:183]// 00000000B128: D3D700B4 1ED2C58A
	v_mfma_i32_16x16x32_i8 v[180:183], a[140:141], a[100:101], v[180:183]// 00000000B130: D3D700B4 1ED2C98C
	v_mfma_i32_16x16x32_i8 v[180:183], a[142:143], a[102:103], v[180:183]// 00000000B138: D3D700B4 1ED2CD8E
	v_mfma_i32_16x16x32_i8 v[156:159], a[128:129], a[104:105], v[156:159]// 00000000B140: D3D7009C 1E72D180
	s_add_u32 s60, 0x180, s80                                  // 00000000B148: 803C50FF 00000180
	s_cmp_lt_u32 s60, s81                                      // 00000000B150: BF0A513C
	s_cselect_b32 s57, s57, 0                                  // 00000000B154: 85398039
	v_mfma_i32_16x16x32_i8 v[156:159], a[130:131], a[106:107], v[156:159]// 00000000B158: D3D7009C 1E72D582
	s_add_u32 s60, 0x100, s80                                  // 00000000B160: 803C50FF 00000100
	s_cmp_lt_u32 s60, s81                                      // 00000000B168: BF0A513C
	s_cselect_b32 s58, s58, 0                                  // 00000000B16C: 853A803A
	v_mfma_i32_16x16x32_i8 v[156:159], a[132:133], a[108:109], v[156:159]// 00000000B170: D3D7009C 1E72D984
	s_add_u32 s60, 0x100, s80                                  // 00000000B178: 803C50FF 00000100
	s_cmp_lt_u32 s60, s81                                      // 00000000B180: BF0A513C
	s_cselect_b32 s83, s83, 0                                  // 00000000B184: 85538053
	v_mfma_i32_16x16x32_i8 v[156:159], a[134:135], a[110:111], v[156:159]// 00000000B188: D3D7009C 1E72DD86
	s_add_u32 s24, s58, s24                                    // 00000000B190: 8018183A
	s_addc_u32 s25, 0, s25                                     // 00000000B194: 82191980
	v_mfma_i32_16x16x32_i8 v[184:187], a[136:137], a[104:105], v[184:187]// 00000000B198: D3D700B8 1EE2D188
	s_add_u32 s20, s57, s20                                    // 00000000B1A0: 80141439
	s_addc_u32 s21, 0, s21                                     // 00000000B1A4: 82151580
	v_mfma_i32_16x16x32_i8 v[184:187], a[138:139], a[106:107], v[184:187]// 00000000B1A8: D3D700B8 1EE2D58A
	s_add_u32 s84, s83, s84                                    // 00000000B1B0: 80545453
	s_addc_u32 s85, 0, s85                                     // 00000000B1B4: 82555580
	v_mfma_i32_16x16x32_i8 v[184:187], a[140:141], a[108:109], v[184:187]// 00000000B1B8: D3D700B8 1EE2D98C
	v_mfma_i32_16x16x32_i8 v[184:187], a[142:143], a[110:111], v[184:187]// 00000000B1C0: D3D700B8 1EE2DD8E
	s_addk_i32 s80, 0x80                                       // 00000000B1C8: B7500080
	s_cmp_lt_i32 s80, s81                                      // 00000000B1CC: BF045150
	s_cbranch_scc0 label_24AF                                  // 00000000B1D0: BF8402B7
	s_waitcnt vmcnt(18) lgkmcnt(0)                             // 00000000B1D4: BF8C4072
	v_mfma_i32_16x16x32_i8 v[76:79], a[144:145], a[0:1], v[76:79]// 00000000B1D8: D3D7004C 1D320190
	buffer_load_dwordx4 a[128:131], v72, s[24:27], 0 offen     // 00000000B1E0: E05C1000 80868048
	v_mfma_i32_16x16x32_i8 v[76:79], a[146:147], a[2:3], v[76:79]// 00000000B1E8: D3D7004C 1D320592
	v_mfma_i32_16x16x32_i8 v[76:79], a[148:149], a[4:5], v[76:79]// 00000000B1F0: D3D7004C 1D320994
	v_mfma_i32_16x16x32_i8 v[76:79], a[150:151], a[6:7], v[76:79]// 00000000B1F8: D3D7004C 1D320D96
	v_mfma_i32_16x16x32_i8 v[104:107], a[152:153], a[0:1], v[104:107]// 00000000B200: D3D70068 1DA20198
	buffer_load_dwordx4 a[132:135], v72, s[24:27], 0 offen offset:1024// 00000000B208: E05C1400 80868448
	v_mfma_i32_16x16x32_i8 v[104:107], a[154:155], a[2:3], v[104:107]// 00000000B210: D3D70068 1DA2059A
	v_mfma_i32_16x16x32_i8 v[104:107], a[156:157], a[4:5], v[104:107]// 00000000B218: D3D70068 1DA2099C
	v_mfma_i32_16x16x32_i8 v[104:107], a[158:159], a[6:7], v[104:107]// 00000000B220: D3D70068 1DA20D9E
	v_mfma_i32_16x16x32_i8 v[80:83], a[144:145], a[8:9], v[80:83]// 00000000B228: D3D70050 1D421190
	buffer_load_dwordx4 a[136:139], v73, s[24:27], 0 offen     // 00000000B230: E05C1000 80868849
	v_mfma_i32_16x16x32_i8 v[80:83], a[146:147], a[10:11], v[80:83]// 00000000B238: D3D70050 1D421592
	v_mfma_i32_16x16x32_i8 v[80:83], a[148:149], a[12:13], v[80:83]// 00000000B240: D3D70050 1D421994
	v_mfma_i32_16x16x32_i8 v[80:83], a[150:151], a[14:15], v[80:83]// 00000000B248: D3D70050 1D421D96
	v_mfma_i32_16x16x32_i8 v[108:111], a[152:153], a[8:9], v[108:111]// 00000000B250: D3D7006C 1DB21198
	buffer_load_dwordx4 a[140:143], v73, s[24:27], 0 offen offset:1024// 00000000B258: E05C1400 80868C49
	buffer_load_dword v58, s[20:23], 0 offen lds               // 00000000B260: E0511000 8005003A
	s_add_u32 m0, 0x100, s48                                   // 00000000B268: 807C30FF 00000100
	v_mfma_i32_16x16x32_i8 v[108:111], a[154:155], a[10:11], v[108:111]// 00000000B270: D3D7006C 1DB2159A
	v_mfma_i32_16x16x32_i8 v[108:111], a[156:157], a[12:13], v[108:111]// 00000000B278: D3D7006C 1DB2199C
	buffer_load_dword v59, s[20:23], 0 offen lds               // 00000000B280: E0511000 8005003B
	s_add_u32 m0, 0x200, s48                                   // 00000000B288: 807C30FF 00000200
	v_mfma_i32_16x16x32_i8 v[108:111], a[158:159], a[14:15], v[108:111]// 00000000B290: D3D7006C 1DB21D9E
	v_mfma_i32_16x16x32_i8 v[84:87], a[144:145], a[16:17], v[84:87]// 00000000B298: D3D70054 1D522190
	buffer_load_dword v60, s[20:23], 0 offen lds               // 00000000B2A0: E0511000 8005003C
	s_add_u32 m0, 0x300, s48                                   // 00000000B2A8: 807C30FF 00000300
	v_mfma_i32_16x16x32_i8 v[84:87], a[146:147], a[18:19], v[84:87]// 00000000B2B0: D3D70054 1D522592
	v_mfma_i32_16x16x32_i8 v[84:87], a[148:149], a[20:21], v[84:87]// 00000000B2B8: D3D70054 1D522994
	buffer_load_dword v61, s[20:23], 0 offen lds               // 00000000B2C0: E0511000 8005003D
	s_add_u32 m0, 0x400, s48                                   // 00000000B2C8: 807C30FF 00000400
	v_mfma_i32_16x16x32_i8 v[84:87], a[150:151], a[22:23], v[84:87]// 00000000B2D0: D3D70054 1D522D96
	v_mfma_i32_16x16x32_i8 v[112:115], a[152:153], a[16:17], v[112:115]// 00000000B2D8: D3D70070 1DC22198
	buffer_load_dword v62, s[20:23], 0 offen lds               // 00000000B2E0: E0511000 8005003E
	s_add_u32 m0, 0x500, s48                                   // 00000000B2E8: 807C30FF 00000500
	v_mfma_i32_16x16x32_i8 v[112:115], a[154:155], a[18:19], v[112:115]// 00000000B2F0: D3D70070 1DC2259A
	v_mfma_i32_16x16x32_i8 v[112:115], a[156:157], a[20:21], v[112:115]// 00000000B2F8: D3D70070 1DC2299C
	buffer_load_dword v63, s[20:23], 0 offen lds               // 00000000B300: E0511000 8005003F
	s_add_u32 m0, 0x600, s48                                   // 00000000B308: 807C30FF 00000600
	v_mfma_i32_16x16x32_i8 v[112:115], a[158:159], a[22:23], v[112:115]// 00000000B310: D3D70070 1DC22D9E
	v_mfma_i32_16x16x32_i8 v[88:91], a[144:145], a[24:25], v[88:91]// 00000000B318: D3D70058 1D623190
	buffer_load_dword v64, s[20:23], 0 offen lds               // 00000000B320: E0511000 80050040
	s_add_u32 m0, 0x700, s48                                   // 00000000B328: 807C30FF 00000700
	v_mfma_i32_16x16x32_i8 v[88:91], a[146:147], a[26:27], v[88:91]// 00000000B330: D3D70058 1D623592
	v_mfma_i32_16x16x32_i8 v[88:91], a[148:149], a[28:29], v[88:91]// 00000000B338: D3D70058 1D623994
	buffer_load_dword v65, s[20:23], 0 offen lds               // 00000000B340: E0511000 80050041
	s_add_u32 m0, 0x800, s48                                   // 00000000B348: 807C30FF 00000800
	v_mfma_i32_16x16x32_i8 v[88:91], a[150:151], a[30:31], v[88:91]// 00000000B350: D3D70058 1D623D96
	v_mfma_i32_16x16x32_i8 v[116:119], a[152:153], a[24:25], v[116:119]// 00000000B358: D3D70074 1DD23198
	buffer_load_dword v66, s[20:23], 0 offen lds               // 00000000B360: E0511000 80050042
	s_add_u32 m0, 0x900, s48                                   // 00000000B368: 807C30FF 00000900
	v_mfma_i32_16x16x32_i8 v[116:119], a[154:155], a[26:27], v[116:119]// 00000000B370: D3D70074 1DD2359A
	v_mfma_i32_16x16x32_i8 v[116:119], a[156:157], a[28:29], v[116:119]// 00000000B378: D3D70074 1DD2399C
	buffer_load_dword v67, s[20:23], 0 offen lds               // 00000000B380: E0511000 80050043
	s_add_u32 m0, 0xa00, s48                                   // 00000000B388: 807C30FF 00000A00
	v_mfma_i32_16x16x32_i8 v[116:119], a[158:159], a[30:31], v[116:119]// 00000000B390: D3D70074 1DD23D9E
	v_mfma_i32_16x16x32_i8 v[92:95], a[144:145], a[32:33], v[92:95]// 00000000B398: D3D7005C 1D724190
	buffer_load_dword v68, s[20:23], 0 offen lds               // 00000000B3A0: E0511000 80050044
	s_add_u32 m0, 0xb00, s48                                   // 00000000B3A8: 807C30FF 00000B00
	v_mfma_i32_16x16x32_i8 v[92:95], a[146:147], a[34:35], v[92:95]// 00000000B3B0: D3D7005C 1D724592
	v_mfma_i32_16x16x32_i8 v[92:95], a[148:149], a[36:37], v[92:95]// 00000000B3B8: D3D7005C 1D724994
	buffer_load_dword v69, s[20:23], 0 offen lds               // 00000000B3C0: E0511000 80050045
	s_add_u32 m0, 0xc00, s48                                   // 00000000B3C8: 807C30FF 00000C00
	v_mfma_i32_16x16x32_i8 v[92:95], a[150:151], a[38:39], v[92:95]// 00000000B3D0: D3D7005C 1D724D96
	v_mfma_i32_16x16x32_i8 v[120:123], a[152:153], a[32:33], v[120:123]// 00000000B3D8: D3D70078 1DE24198
	buffer_load_dword v70, s[20:23], 0 offen lds               // 00000000B3E0: E0511000 80050046
	s_add_u32 m0, 0xd00, s48                                   // 00000000B3E8: 807C30FF 00000D00
	v_mfma_i32_16x16x32_i8 v[120:123], a[154:155], a[34:35], v[120:123]// 00000000B3F0: D3D70078 1DE2459A
	v_mfma_i32_16x16x32_i8 v[120:123], a[156:157], a[36:37], v[120:123]// 00000000B3F8: D3D70078 1DE2499C
	buffer_load_dword v71, s[20:23], 0 offen lds               // 00000000B400: E0511000 80050047
	s_add_u32 m0, 0, s49                                       // 00000000B408: 807C3180
	v_mfma_i32_16x16x32_i8 v[120:123], a[158:159], a[38:39], v[120:123]// 00000000B40C: D3D70078 1DE24D9E
	v_mfma_i32_16x16x32_i8 v[96:99], a[144:145], a[40:41], v[96:99]// 00000000B414: D3D70060 1D825190
	v_mfma_i32_16x16x32_i8 v[96:99], a[146:147], a[42:43], v[96:99]// 00000000B41C: D3D70060 1D825592
	v_mfma_i32_16x16x32_i8 v[96:99], a[148:149], a[44:45], v[96:99]// 00000000B424: D3D70060 1D825994
	v_mfma_i32_16x16x32_i8 v[96:99], a[150:151], a[46:47], v[96:99]// 00000000B42C: D3D70060 1D825D96
	v_mfma_i32_16x16x32_i8 v[124:127], a[152:153], a[40:41], v[124:127]// 00000000B434: D3D7007C 1DF25198
	v_mfma_i32_16x16x32_i8 v[124:127], a[154:155], a[42:43], v[124:127]// 00000000B43C: D3D7007C 1DF2559A
	v_mfma_i32_16x16x32_i8 v[124:127], a[156:157], a[44:45], v[124:127]// 00000000B444: D3D7007C 1DF2599C
	v_mfma_i32_16x16x32_i8 v[124:127], a[158:159], a[46:47], v[124:127]// 00000000B44C: D3D7007C 1DF25D9E
	v_mfma_i32_16x16x32_i8 v[100:103], a[144:145], a[48:49], v[100:103]// 00000000B454: D3D70064 1D926190
	v_mfma_i32_16x16x32_i8 v[100:103], a[146:147], a[50:51], v[100:103]// 00000000B45C: D3D70064 1D926592
	v_mfma_i32_16x16x32_i8 v[100:103], a[148:149], a[52:53], v[100:103]// 00000000B464: D3D70064 1D926994
	v_mfma_i32_16x16x32_i8 v[100:103], a[150:151], a[54:55], v[100:103]// 00000000B46C: D3D70064 1D926D96
	v_mfma_i32_16x16x32_i8 v[128:131], a[152:153], a[48:49], v[128:131]// 00000000B474: D3D70080 1E026198
	v_mfma_i32_16x16x32_i8 v[128:131], a[154:155], a[50:51], v[128:131]// 00000000B47C: D3D70080 1E02659A
	v_mfma_i32_16x16x32_i8 v[128:131], a[156:157], a[52:53], v[128:131]// 00000000B484: D3D70080 1E02699C
	v_mfma_i32_16x16x32_i8 v[128:131], a[158:159], a[54:55], v[128:131]// 00000000B48C: D3D70080 1E026D9E
	s_waitcnt vmcnt(18)                                        // 00000000B494: BF8C4F72
	s_barrier                                                  // 00000000B498: BF8A0000
	v_mfma_i32_16x16x32_i8 v[132:135], a[112:113], a[0:1], v[132:135]// 00000000B49C: D3D70084 1E120170
	buffer_load_dwordx4 a[144:147], v72, s[84:87], 0 offen     // 00000000B4A4: E05C1000 80959048
	v_mfma_i32_16x16x32_i8 v[132:135], a[114:115], a[2:3], v[132:135]// 00000000B4AC: D3D70084 1E120572
	v_mfma_i32_16x16x32_i8 v[132:135], a[116:117], a[4:5], v[132:135]// 00000000B4B4: D3D70084 1E120974
	ds_read_b128 a[56:59], v2 offset:28928                     // 00000000B4BC: DBFE7100 38000002
	ds_read_b128 a[60:63], v2 offset:28992                     // 00000000B4C4: DBFE7140 3C000002
	v_mfma_i32_16x16x32_i8 v[132:135], a[118:119], a[6:7], v[132:135]// 00000000B4CC: D3D70084 1E120D76
	v_mfma_i32_16x16x32_i8 v[160:163], a[120:121], a[0:1], v[160:163]// 00000000B4D4: D3D700A0 1E820178
	buffer_load_dwordx4 a[148:151], v72, s[84:87], 0 offen offset:1024// 00000000B4DC: E05C1400 80959448
	v_mfma_i32_16x16x32_i8 v[160:163], a[122:123], a[2:3], v[160:163]// 00000000B4E4: D3D700A0 1E82057A
	v_mfma_i32_16x16x32_i8 v[160:163], a[124:125], a[4:5], v[160:163]// 00000000B4EC: D3D700A0 1E82097C
	ds_read_b128 a[64:67], v2 offset:29440                     // 00000000B4F4: DBFE7300 40000002
	ds_read_b128 a[68:71], v2 offset:29504                     // 00000000B4FC: DBFE7340 44000002
	v_mfma_i32_16x16x32_i8 v[160:163], a[126:127], a[6:7], v[160:163]// 00000000B504: D3D700A0 1E820D7E
	v_mfma_i32_16x16x32_i8 v[136:139], a[112:113], a[8:9], v[136:139]// 00000000B50C: D3D70088 1E221170
	buffer_load_dwordx4 a[152:155], v73, s[84:87], 0 offen     // 00000000B514: E05C1000 80959849
	v_mfma_i32_16x16x32_i8 v[136:139], a[114:115], a[10:11], v[136:139]// 00000000B51C: D3D70088 1E221572
	v_mfma_i32_16x16x32_i8 v[136:139], a[116:117], a[12:13], v[136:139]// 00000000B524: D3D70088 1E221974
	ds_read_b128 a[72:75], v2 offset:29952                     // 00000000B52C: DBFE7500 48000002
	ds_read_b128 a[76:79], v2 offset:30016                     // 00000000B534: DBFE7540 4C000002
	v_mfma_i32_16x16x32_i8 v[136:139], a[118:119], a[14:15], v[136:139]// 00000000B53C: D3D70088 1E221D76
	v_mfma_i32_16x16x32_i8 v[164:167], a[120:121], a[8:9], v[164:167]// 00000000B544: D3D700A4 1E921178
	buffer_load_dwordx4 a[156:159], v73, s[84:87], 0 offen offset:1024// 00000000B54C: E05C1400 80959C49
	v_mfma_i32_16x16x32_i8 v[164:167], a[122:123], a[10:11], v[164:167]// 00000000B554: D3D700A4 1E92157A
	v_mfma_i32_16x16x32_i8 v[164:167], a[124:125], a[12:13], v[164:167]// 00000000B55C: D3D700A4 1E92197C
	ds_read_b128 a[80:83], v2 offset:30464                     // 00000000B564: DBFE7700 50000002
	ds_read_b128 a[84:87], v2 offset:30528                     // 00000000B56C: DBFE7740 54000002
	v_mfma_i32_16x16x32_i8 v[164:167], a[126:127], a[14:15], v[164:167]// 00000000B574: D3D700A4 1E921D7E
	v_mfma_i32_16x16x32_i8 v[140:143], a[112:113], a[16:17], v[140:143]// 00000000B57C: D3D7008C 1E322170
	v_mfma_i32_16x16x32_i8 v[140:143], a[114:115], a[18:19], v[140:143]// 00000000B584: D3D7008C 1E322572
	v_mfma_i32_16x16x32_i8 v[140:143], a[116:117], a[20:21], v[140:143]// 00000000B58C: D3D7008C 1E322974
	ds_read_b128 a[88:91], v2 offset:30976                     // 00000000B594: DBFE7900 58000002
	ds_read_b128 a[92:95], v2 offset:31040                     // 00000000B59C: DBFE7940 5C000002
	v_mfma_i32_16x16x32_i8 v[140:143], a[118:119], a[22:23], v[140:143]// 00000000B5A4: D3D7008C 1E322D76
	v_mfma_i32_16x16x32_i8 v[168:171], a[120:121], a[16:17], v[168:171]// 00000000B5AC: D3D700A8 1EA22178
	v_mfma_i32_16x16x32_i8 v[168:171], a[122:123], a[18:19], v[168:171]// 00000000B5B4: D3D700A8 1EA2257A
	v_mfma_i32_16x16x32_i8 v[168:171], a[124:125], a[20:21], v[168:171]// 00000000B5BC: D3D700A8 1EA2297C
	ds_read_b128 a[96:99], v2 offset:31488                     // 00000000B5C4: DBFE7B00 60000002
	ds_read_b128 a[100:103], v2 offset:31552                   // 00000000B5CC: DBFE7B40 64000002
	v_mfma_i32_16x16x32_i8 v[168:171], a[126:127], a[22:23], v[168:171]// 00000000B5D4: D3D700A8 1EA22D7E
	v_mfma_i32_16x16x32_i8 v[144:147], a[112:113], a[24:25], v[144:147]// 00000000B5DC: D3D70090 1E423170
	v_mfma_i32_16x16x32_i8 v[144:147], a[114:115], a[26:27], v[144:147]// 00000000B5E4: D3D70090 1E423572
	v_mfma_i32_16x16x32_i8 v[144:147], a[116:117], a[28:29], v[144:147]// 00000000B5EC: D3D70090 1E423974
	ds_read_b128 a[104:107], v2 offset:32000                   // 00000000B5F4: DBFE7D00 68000002
	ds_read_b128 a[108:111], v2 offset:32064                   // 00000000B5FC: DBFE7D40 6C000002
	v_mfma_i32_16x16x32_i8 v[144:147], a[118:119], a[30:31], v[144:147]// 00000000B604: D3D70090 1E423D76
	v_mfma_i32_16x16x32_i8 v[172:175], a[120:121], a[24:25], v[172:175]// 00000000B60C: D3D700AC 1EB23178
	v_mfma_i32_16x16x32_i8 v[172:175], a[122:123], a[26:27], v[172:175]// 00000000B614: D3D700AC 1EB2357A
	v_mfma_i32_16x16x32_i8 v[172:175], a[124:125], a[28:29], v[172:175]// 00000000B61C: D3D700AC 1EB2397C
	v_mfma_i32_16x16x32_i8 v[172:175], a[126:127], a[30:31], v[172:175]// 00000000B624: D3D700AC 1EB23D7E
	v_mfma_i32_16x16x32_i8 v[148:151], a[112:113], a[32:33], v[148:151]// 00000000B62C: D3D70094 1E524170
	v_mfma_i32_16x16x32_i8 v[148:151], a[114:115], a[34:35], v[148:151]// 00000000B634: D3D70094 1E524572
	v_mfma_i32_16x16x32_i8 v[148:151], a[116:117], a[36:37], v[148:151]// 00000000B63C: D3D70094 1E524974
	v_mfma_i32_16x16x32_i8 v[148:151], a[118:119], a[38:39], v[148:151]// 00000000B644: D3D70094 1E524D76
	v_mfma_i32_16x16x32_i8 v[176:179], a[120:121], a[32:33], v[176:179]// 00000000B64C: D3D700B0 1EC24178
	v_mfma_i32_16x16x32_i8 v[176:179], a[122:123], a[34:35], v[176:179]// 00000000B654: D3D700B0 1EC2457A
	v_mfma_i32_16x16x32_i8 v[176:179], a[124:125], a[36:37], v[176:179]// 00000000B65C: D3D700B0 1EC2497C
	v_mfma_i32_16x16x32_i8 v[176:179], a[126:127], a[38:39], v[176:179]// 00000000B664: D3D700B0 1EC24D7E
	v_mfma_i32_16x16x32_i8 v[152:155], a[112:113], a[40:41], v[152:155]// 00000000B66C: D3D70098 1E625170
	v_mfma_i32_16x16x32_i8 v[152:155], a[114:115], a[42:43], v[152:155]// 00000000B674: D3D70098 1E625572
	v_mfma_i32_16x16x32_i8 v[152:155], a[116:117], a[44:45], v[152:155]// 00000000B67C: D3D70098 1E625974
	v_mfma_i32_16x16x32_i8 v[152:155], a[118:119], a[46:47], v[152:155]// 00000000B684: D3D70098 1E625D76
	v_mfma_i32_16x16x32_i8 v[180:183], a[120:121], a[40:41], v[180:183]// 00000000B68C: D3D700B4 1ED25178
	v_mfma_i32_16x16x32_i8 v[180:183], a[122:123], a[42:43], v[180:183]// 00000000B694: D3D700B4 1ED2557A
	v_mfma_i32_16x16x32_i8 v[180:183], a[124:125], a[44:45], v[180:183]// 00000000B69C: D3D700B4 1ED2597C
	v_mfma_i32_16x16x32_i8 v[180:183], a[126:127], a[46:47], v[180:183]// 00000000B6A4: D3D700B4 1ED25D7E
	v_mfma_i32_16x16x32_i8 v[156:159], a[112:113], a[48:49], v[156:159]// 00000000B6AC: D3D7009C 1E726170
	s_add_u32 s60, 0x180, s80                                  // 00000000B6B4: 803C50FF 00000180
	s_cmp_lt_u32 s60, s81                                      // 00000000B6BC: BF0A513C
	s_cselect_b32 s57, s57, 0                                  // 00000000B6C0: 85398039
	v_mfma_i32_16x16x32_i8 v[156:159], a[114:115], a[50:51], v[156:159]// 00000000B6C4: D3D7009C 1E726572
	s_add_u32 s60, 0x100, s80                                  // 00000000B6CC: 803C50FF 00000100
	s_cmp_lt_u32 s60, s81                                      // 00000000B6D4: BF0A513C
	s_cselect_b32 s58, s58, 0                                  // 00000000B6D8: 853A803A
	v_mfma_i32_16x16x32_i8 v[156:159], a[116:117], a[52:53], v[156:159]// 00000000B6DC: D3D7009C 1E726974
	s_add_u32 s60, 0x100, s80                                  // 00000000B6E4: 803C50FF 00000100
	s_cmp_lt_u32 s60, s81                                      // 00000000B6EC: BF0A513C
	s_cselect_b32 s83, s83, 0                                  // 00000000B6F0: 85538053
	v_mfma_i32_16x16x32_i8 v[156:159], a[118:119], a[54:55], v[156:159]// 00000000B6F4: D3D7009C 1E726D76
	s_add_u32 s24, s58, s24                                    // 00000000B6FC: 8018183A
	s_addc_u32 s25, 0, s25                                     // 00000000B700: 82191980
	v_mfma_i32_16x16x32_i8 v[184:187], a[120:121], a[48:49], v[184:187]// 00000000B704: D3D700B8 1EE26178
	s_add_u32 s20, s57, s20                                    // 00000000B70C: 80141439
	s_addc_u32 s21, 0, s21                                     // 00000000B710: 82151580
	v_mfma_i32_16x16x32_i8 v[184:187], a[122:123], a[50:51], v[184:187]// 00000000B714: D3D700B8 1EE2657A
	s_add_u32 s84, s83, s84                                    // 00000000B71C: 80545453
	s_addc_u32 s85, 0, s85                                     // 00000000B720: 82555580
	v_mfma_i32_16x16x32_i8 v[184:187], a[124:125], a[52:53], v[184:187]// 00000000B724: D3D700B8 1EE2697C
	v_mfma_i32_16x16x32_i8 v[184:187], a[126:127], a[54:55], v[184:187]// 00000000B72C: D3D700B8 1EE26D7E
	s_addk_i32 s80, 0x80                                       // 00000000B734: B7500080
	s_cmp_lt_i32 s80, s81                                      // 00000000B738: BF045150
	s_cbranch_scc0 label_24AF                                  // 00000000B73C: BF84015C
	s_waitcnt vmcnt(18) lgkmcnt(0)                             // 00000000B740: BF8C4072
	v_mfma_i32_16x16x32_i8 v[76:79], a[128:129], a[56:57], v[76:79]// 00000000B744: D3D7004C 1D327180
	buffer_load_dwordx4 a[112:115], v72, s[24:27], 0 offen     // 00000000B74C: E05C1000 80867048
	v_mfma_i32_16x16x32_i8 v[76:79], a[130:131], a[58:59], v[76:79]// 00000000B754: D3D7004C 1D327582
	v_mfma_i32_16x16x32_i8 v[76:79], a[132:133], a[60:61], v[76:79]// 00000000B75C: D3D7004C 1D327984
	v_mfma_i32_16x16x32_i8 v[76:79], a[134:135], a[62:63], v[76:79]// 00000000B764: D3D7004C 1D327D86
	v_mfma_i32_16x16x32_i8 v[104:107], a[136:137], a[56:57], v[104:107]// 00000000B76C: D3D70068 1DA27188
	buffer_load_dwordx4 a[116:119], v72, s[24:27], 0 offen offset:1024// 00000000B774: E05C1400 80867448
	v_mfma_i32_16x16x32_i8 v[104:107], a[138:139], a[58:59], v[104:107]// 00000000B77C: D3D70068 1DA2758A
	v_mfma_i32_16x16x32_i8 v[104:107], a[140:141], a[60:61], v[104:107]// 00000000B784: D3D70068 1DA2798C
	v_mfma_i32_16x16x32_i8 v[104:107], a[142:143], a[62:63], v[104:107]// 00000000B78C: D3D70068 1DA27D8E
	v_mfma_i32_16x16x32_i8 v[80:83], a[128:129], a[64:65], v[80:83]// 00000000B794: D3D70050 1D428180
	buffer_load_dwordx4 a[120:123], v73, s[24:27], 0 offen     // 00000000B79C: E05C1000 80867849
	v_mfma_i32_16x16x32_i8 v[80:83], a[130:131], a[66:67], v[80:83]// 00000000B7A4: D3D70050 1D428582
	v_mfma_i32_16x16x32_i8 v[80:83], a[132:133], a[68:69], v[80:83]// 00000000B7AC: D3D70050 1D428984
	v_mfma_i32_16x16x32_i8 v[80:83], a[134:135], a[70:71], v[80:83]// 00000000B7B4: D3D70050 1D428D86
	v_mfma_i32_16x16x32_i8 v[108:111], a[136:137], a[64:65], v[108:111]// 00000000B7BC: D3D7006C 1DB28188
	buffer_load_dwordx4 a[124:127], v73, s[24:27], 0 offen offset:1024// 00000000B7C4: E05C1400 80867C49
	buffer_load_dword v58, s[20:23], 0 offen lds               // 00000000B7CC: E0511000 8005003A
	s_add_u32 m0, 0x100, s49                                   // 00000000B7D4: 807C31FF 00000100
	v_mfma_i32_16x16x32_i8 v[108:111], a[138:139], a[66:67], v[108:111]// 00000000B7DC: D3D7006C 1DB2858A
	v_mfma_i32_16x16x32_i8 v[108:111], a[140:141], a[68:69], v[108:111]// 00000000B7E4: D3D7006C 1DB2898C
	buffer_load_dword v59, s[20:23], 0 offen lds               // 00000000B7EC: E0511000 8005003B
	s_add_u32 m0, 0x200, s49                                   // 00000000B7F4: 807C31FF 00000200
	v_mfma_i32_16x16x32_i8 v[108:111], a[142:143], a[70:71], v[108:111]// 00000000B7FC: D3D7006C 1DB28D8E
	v_mfma_i32_16x16x32_i8 v[84:87], a[128:129], a[72:73], v[84:87]// 00000000B804: D3D70054 1D529180
	buffer_load_dword v60, s[20:23], 0 offen lds               // 00000000B80C: E0511000 8005003C
	s_add_u32 m0, 0x300, s49                                   // 00000000B814: 807C31FF 00000300
	v_mfma_i32_16x16x32_i8 v[84:87], a[130:131], a[74:75], v[84:87]// 00000000B81C: D3D70054 1D529582
	v_mfma_i32_16x16x32_i8 v[84:87], a[132:133], a[76:77], v[84:87]// 00000000B824: D3D70054 1D529984
	buffer_load_dword v61, s[20:23], 0 offen lds               // 00000000B82C: E0511000 8005003D
	s_add_u32 m0, 0x400, s49                                   // 00000000B834: 807C31FF 00000400
	v_mfma_i32_16x16x32_i8 v[84:87], a[134:135], a[78:79], v[84:87]// 00000000B83C: D3D70054 1D529D86
	v_mfma_i32_16x16x32_i8 v[112:115], a[136:137], a[72:73], v[112:115]// 00000000B844: D3D70070 1DC29188
	buffer_load_dword v62, s[20:23], 0 offen lds               // 00000000B84C: E0511000 8005003E
	s_add_u32 m0, 0x500, s49                                   // 00000000B854: 807C31FF 00000500
	v_mfma_i32_16x16x32_i8 v[112:115], a[138:139], a[74:75], v[112:115]// 00000000B85C: D3D70070 1DC2958A
	v_mfma_i32_16x16x32_i8 v[112:115], a[140:141], a[76:77], v[112:115]// 00000000B864: D3D70070 1DC2998C
	buffer_load_dword v63, s[20:23], 0 offen lds               // 00000000B86C: E0511000 8005003F
	s_add_u32 m0, 0x600, s49                                   // 00000000B874: 807C31FF 00000600
	v_mfma_i32_16x16x32_i8 v[112:115], a[142:143], a[78:79], v[112:115]// 00000000B87C: D3D70070 1DC29D8E
	v_mfma_i32_16x16x32_i8 v[88:91], a[128:129], a[80:81], v[88:91]// 00000000B884: D3D70058 1D62A180
	buffer_load_dword v64, s[20:23], 0 offen lds               // 00000000B88C: E0511000 80050040
	s_add_u32 m0, 0x700, s49                                   // 00000000B894: 807C31FF 00000700
	v_mfma_i32_16x16x32_i8 v[88:91], a[130:131], a[82:83], v[88:91]// 00000000B89C: D3D70058 1D62A582
	v_mfma_i32_16x16x32_i8 v[88:91], a[132:133], a[84:85], v[88:91]// 00000000B8A4: D3D70058 1D62A984
	buffer_load_dword v65, s[20:23], 0 offen lds               // 00000000B8AC: E0511000 80050041
	s_add_u32 m0, 0x800, s49                                   // 00000000B8B4: 807C31FF 00000800
	v_mfma_i32_16x16x32_i8 v[88:91], a[134:135], a[86:87], v[88:91]// 00000000B8BC: D3D70058 1D62AD86
	v_mfma_i32_16x16x32_i8 v[116:119], a[136:137], a[80:81], v[116:119]// 00000000B8C4: D3D70074 1DD2A188
	buffer_load_dword v66, s[20:23], 0 offen lds               // 00000000B8CC: E0511000 80050042
	s_add_u32 m0, 0x900, s49                                   // 00000000B8D4: 807C31FF 00000900
	v_mfma_i32_16x16x32_i8 v[116:119], a[138:139], a[82:83], v[116:119]// 00000000B8DC: D3D70074 1DD2A58A
	v_mfma_i32_16x16x32_i8 v[116:119], a[140:141], a[84:85], v[116:119]// 00000000B8E4: D3D70074 1DD2A98C
	buffer_load_dword v67, s[20:23], 0 offen lds               // 00000000B8EC: E0511000 80050043
	s_add_u32 m0, 0xa00, s49                                   // 00000000B8F4: 807C31FF 00000A00
	v_mfma_i32_16x16x32_i8 v[116:119], a[142:143], a[86:87], v[116:119]// 00000000B8FC: D3D70074 1DD2AD8E
	v_mfma_i32_16x16x32_i8 v[92:95], a[128:129], a[88:89], v[92:95]// 00000000B904: D3D7005C 1D72B180
	buffer_load_dword v68, s[20:23], 0 offen lds               // 00000000B90C: E0511000 80050044
	s_add_u32 m0, 0xb00, s49                                   // 00000000B914: 807C31FF 00000B00
	v_mfma_i32_16x16x32_i8 v[92:95], a[130:131], a[90:91], v[92:95]// 00000000B91C: D3D7005C 1D72B582
	v_mfma_i32_16x16x32_i8 v[92:95], a[132:133], a[92:93], v[92:95]// 00000000B924: D3D7005C 1D72B984
	buffer_load_dword v69, s[20:23], 0 offen lds               // 00000000B92C: E0511000 80050045
	s_add_u32 m0, 0xc00, s49                                   // 00000000B934: 807C31FF 00000C00
	v_mfma_i32_16x16x32_i8 v[92:95], a[134:135], a[94:95], v[92:95]// 00000000B93C: D3D7005C 1D72BD86
	v_mfma_i32_16x16x32_i8 v[120:123], a[136:137], a[88:89], v[120:123]// 00000000B944: D3D70078 1DE2B188
	buffer_load_dword v70, s[20:23], 0 offen lds               // 00000000B94C: E0511000 80050046
	s_add_u32 m0, 0xd00, s49                                   // 00000000B954: 807C31FF 00000D00
	v_mfma_i32_16x16x32_i8 v[120:123], a[138:139], a[90:91], v[120:123]// 00000000B95C: D3D70078 1DE2B58A
	v_mfma_i32_16x16x32_i8 v[120:123], a[140:141], a[92:93], v[120:123]// 00000000B964: D3D70078 1DE2B98C
	buffer_load_dword v71, s[20:23], 0 offen lds               // 00000000B96C: E0511000 80050047
	s_add_u32 m0, 0, s50                                       // 00000000B974: 807C3280
	v_mfma_i32_16x16x32_i8 v[120:123], a[142:143], a[94:95], v[120:123]// 00000000B978: D3D70078 1DE2BD8E
	v_mfma_i32_16x16x32_i8 v[96:99], a[128:129], a[96:97], v[96:99]// 00000000B980: D3D70060 1D82C180
	v_mfma_i32_16x16x32_i8 v[96:99], a[130:131], a[98:99], v[96:99]// 00000000B988: D3D70060 1D82C582
	v_mfma_i32_16x16x32_i8 v[96:99], a[132:133], a[100:101], v[96:99]// 00000000B990: D3D70060 1D82C984
	v_mfma_i32_16x16x32_i8 v[96:99], a[134:135], a[102:103], v[96:99]// 00000000B998: D3D70060 1D82CD86
	v_mfma_i32_16x16x32_i8 v[124:127], a[136:137], a[96:97], v[124:127]// 00000000B9A0: D3D7007C 1DF2C188
	v_mfma_i32_16x16x32_i8 v[124:127], a[138:139], a[98:99], v[124:127]// 00000000B9A8: D3D7007C 1DF2C58A
	v_mfma_i32_16x16x32_i8 v[124:127], a[140:141], a[100:101], v[124:127]// 00000000B9B0: D3D7007C 1DF2C98C
	v_mfma_i32_16x16x32_i8 v[124:127], a[142:143], a[102:103], v[124:127]// 00000000B9B8: D3D7007C 1DF2CD8E
	v_mfma_i32_16x16x32_i8 v[100:103], a[128:129], a[104:105], v[100:103]// 00000000B9C0: D3D70064 1D92D180
	v_mfma_i32_16x16x32_i8 v[100:103], a[130:131], a[106:107], v[100:103]// 00000000B9C8: D3D70064 1D92D582
	v_mfma_i32_16x16x32_i8 v[100:103], a[132:133], a[108:109], v[100:103]// 00000000B9D0: D3D70064 1D92D984
	v_mfma_i32_16x16x32_i8 v[100:103], a[134:135], a[110:111], v[100:103]// 00000000B9D8: D3D70064 1D92DD86
	v_mfma_i32_16x16x32_i8 v[128:131], a[136:137], a[104:105], v[128:131]// 00000000B9E0: D3D70080 1E02D188
	v_mfma_i32_16x16x32_i8 v[128:131], a[138:139], a[106:107], v[128:131]// 00000000B9E8: D3D70080 1E02D58A
	v_mfma_i32_16x16x32_i8 v[128:131], a[140:141], a[108:109], v[128:131]// 00000000B9F0: D3D70080 1E02D98C
	v_mfma_i32_16x16x32_i8 v[128:131], a[142:143], a[110:111], v[128:131]// 00000000B9F8: D3D70080 1E02DD8E
	s_waitcnt vmcnt(18)                                        // 00000000BA00: BF8C4F72
	s_barrier                                                  // 00000000BA04: BF8A0000
	v_mfma_i32_16x16x32_i8 v[132:135], a[144:145], a[56:57], v[132:135]// 00000000BA08: D3D70084 1E127190
	buffer_load_dwordx4 a[128:131], v72, s[84:87], 0 offen     // 00000000BA10: E05C1000 80958048
	v_mfma_i32_16x16x32_i8 v[132:135], a[146:147], a[58:59], v[132:135]// 00000000BA18: D3D70084 1E127592
	v_mfma_i32_16x16x32_i8 v[132:135], a[148:149], a[60:61], v[132:135]// 00000000BA20: D3D70084 1E127994
	ds_read_b128 a[0:3], v2                                    // 00000000BA28: DBFE0000 00000002
	ds_read_b128 a[4:7], v2 offset:64                          // 00000000BA30: DBFE0040 04000002
	v_mfma_i32_16x16x32_i8 v[132:135], a[150:151], a[62:63], v[132:135]// 00000000BA38: D3D70084 1E127D96
	v_mfma_i32_16x16x32_i8 v[160:163], a[152:153], a[56:57], v[160:163]// 00000000BA40: D3D700A0 1E827198
	buffer_load_dwordx4 a[132:135], v72, s[84:87], 0 offen offset:1024// 00000000BA48: E05C1400 80958448
	v_mfma_i32_16x16x32_i8 v[160:163], a[154:155], a[58:59], v[160:163]// 00000000BA50: D3D700A0 1E82759A
	v_mfma_i32_16x16x32_i8 v[160:163], a[156:157], a[60:61], v[160:163]// 00000000BA58: D3D700A0 1E82799C
	ds_read_b128 a[8:11], v2 offset:512                        // 00000000BA60: DBFE0200 08000002
	ds_read_b128 a[12:15], v2 offset:576                       // 00000000BA68: DBFE0240 0C000002
	v_mfma_i32_16x16x32_i8 v[160:163], a[158:159], a[62:63], v[160:163]// 00000000BA70: D3D700A0 1E827D9E
	v_mfma_i32_16x16x32_i8 v[136:139], a[144:145], a[64:65], v[136:139]// 00000000BA78: D3D70088 1E228190
	buffer_load_dwordx4 a[136:139], v73, s[84:87], 0 offen     // 00000000BA80: E05C1000 80958849
	v_mfma_i32_16x16x32_i8 v[136:139], a[146:147], a[66:67], v[136:139]// 00000000BA88: D3D70088 1E228592
	v_mfma_i32_16x16x32_i8 v[136:139], a[148:149], a[68:69], v[136:139]// 00000000BA90: D3D70088 1E228994
	ds_read_b128 a[16:19], v2 offset:1024                      // 00000000BA98: DBFE0400 10000002
	ds_read_b128 a[20:23], v2 offset:1088                      // 00000000BAA0: DBFE0440 14000002
	v_mfma_i32_16x16x32_i8 v[136:139], a[150:151], a[70:71], v[136:139]// 00000000BAA8: D3D70088 1E228D96
	v_mfma_i32_16x16x32_i8 v[164:167], a[152:153], a[64:65], v[164:167]// 00000000BAB0: D3D700A4 1E928198
	buffer_load_dwordx4 a[140:143], v73, s[84:87], 0 offen offset:1024// 00000000BAB8: E05C1400 80958C49
	v_mfma_i32_16x16x32_i8 v[164:167], a[154:155], a[66:67], v[164:167]// 00000000BAC0: D3D700A4 1E92859A
	v_mfma_i32_16x16x32_i8 v[164:167], a[156:157], a[68:69], v[164:167]// 00000000BAC8: D3D700A4 1E92899C
	ds_read_b128 a[24:27], v2 offset:1536                      // 00000000BAD0: DBFE0600 18000002
	ds_read_b128 a[28:31], v2 offset:1600                      // 00000000BAD8: DBFE0640 1C000002
	v_mfma_i32_16x16x32_i8 v[164:167], a[158:159], a[70:71], v[164:167]// 00000000BAE0: D3D700A4 1E928D9E
	v_mfma_i32_16x16x32_i8 v[140:143], a[144:145], a[72:73], v[140:143]// 00000000BAE8: D3D7008C 1E329190
	v_mfma_i32_16x16x32_i8 v[140:143], a[146:147], a[74:75], v[140:143]// 00000000BAF0: D3D7008C 1E329592
	v_mfma_i32_16x16x32_i8 v[140:143], a[148:149], a[76:77], v[140:143]// 00000000BAF8: D3D7008C 1E329994
	ds_read_b128 a[32:35], v2 offset:2048                      // 00000000BB00: DBFE0800 20000002
	ds_read_b128 a[36:39], v2 offset:2112                      // 00000000BB08: DBFE0840 24000002
	v_mfma_i32_16x16x32_i8 v[140:143], a[150:151], a[78:79], v[140:143]// 00000000BB10: D3D7008C 1E329D96
	v_mfma_i32_16x16x32_i8 v[168:171], a[152:153], a[72:73], v[168:171]// 00000000BB18: D3D700A8 1EA29198
	v_mfma_i32_16x16x32_i8 v[168:171], a[154:155], a[74:75], v[168:171]// 00000000BB20: D3D700A8 1EA2959A
	v_mfma_i32_16x16x32_i8 v[168:171], a[156:157], a[76:77], v[168:171]// 00000000BB28: D3D700A8 1EA2999C
	ds_read_b128 a[40:43], v2 offset:2560                      // 00000000BB30: DBFE0A00 28000002
	ds_read_b128 a[44:47], v2 offset:2624                      // 00000000BB38: DBFE0A40 2C000002
	v_mfma_i32_16x16x32_i8 v[168:171], a[158:159], a[78:79], v[168:171]// 00000000BB40: D3D700A8 1EA29D9E
	v_mfma_i32_16x16x32_i8 v[144:147], a[144:145], a[80:81], v[144:147]// 00000000BB48: D3D70090 1E42A190
	v_mfma_i32_16x16x32_i8 v[144:147], a[146:147], a[82:83], v[144:147]// 00000000BB50: D3D70090 1E42A592
	v_mfma_i32_16x16x32_i8 v[144:147], a[148:149], a[84:85], v[144:147]// 00000000BB58: D3D70090 1E42A994
	ds_read_b128 a[48:51], v2 offset:3072                      // 00000000BB60: DBFE0C00 30000002
	ds_read_b128 a[52:55], v2 offset:3136                      // 00000000BB68: DBFE0C40 34000002
	v_mfma_i32_16x16x32_i8 v[144:147], a[150:151], a[86:87], v[144:147]// 00000000BB70: D3D70090 1E42AD96
	v_mfma_i32_16x16x32_i8 v[172:175], a[152:153], a[80:81], v[172:175]// 00000000BB78: D3D700AC 1EB2A198
	v_mfma_i32_16x16x32_i8 v[172:175], a[154:155], a[82:83], v[172:175]// 00000000BB80: D3D700AC 1EB2A59A
	v_mfma_i32_16x16x32_i8 v[172:175], a[156:157], a[84:85], v[172:175]// 00000000BB88: D3D700AC 1EB2A99C
	v_mfma_i32_16x16x32_i8 v[172:175], a[158:159], a[86:87], v[172:175]// 00000000BB90: D3D700AC 1EB2AD9E
	v_mfma_i32_16x16x32_i8 v[148:151], a[144:145], a[88:89], v[148:151]// 00000000BB98: D3D70094 1E52B190
	v_mfma_i32_16x16x32_i8 v[148:151], a[146:147], a[90:91], v[148:151]// 00000000BBA0: D3D70094 1E52B592
	v_mfma_i32_16x16x32_i8 v[148:151], a[148:149], a[92:93], v[148:151]// 00000000BBA8: D3D70094 1E52B994
	v_mfma_i32_16x16x32_i8 v[148:151], a[150:151], a[94:95], v[148:151]// 00000000BBB0: D3D70094 1E52BD96
	v_mfma_i32_16x16x32_i8 v[176:179], a[152:153], a[88:89], v[176:179]// 00000000BBB8: D3D700B0 1EC2B198
	v_mfma_i32_16x16x32_i8 v[176:179], a[154:155], a[90:91], v[176:179]// 00000000BBC0: D3D700B0 1EC2B59A
	v_mfma_i32_16x16x32_i8 v[176:179], a[156:157], a[92:93], v[176:179]// 00000000BBC8: D3D700B0 1EC2B99C
	v_mfma_i32_16x16x32_i8 v[176:179], a[158:159], a[94:95], v[176:179]// 00000000BBD0: D3D700B0 1EC2BD9E
	v_mfma_i32_16x16x32_i8 v[152:155], a[144:145], a[96:97], v[152:155]// 00000000BBD8: D3D70098 1E62C190
	v_mfma_i32_16x16x32_i8 v[152:155], a[146:147], a[98:99], v[152:155]// 00000000BBE0: D3D70098 1E62C592
	v_mfma_i32_16x16x32_i8 v[152:155], a[148:149], a[100:101], v[152:155]// 00000000BBE8: D3D70098 1E62C994
	v_mfma_i32_16x16x32_i8 v[152:155], a[150:151], a[102:103], v[152:155]// 00000000BBF0: D3D70098 1E62CD96
	v_mfma_i32_16x16x32_i8 v[180:183], a[152:153], a[96:97], v[180:183]// 00000000BBF8: D3D700B4 1ED2C198
	v_mfma_i32_16x16x32_i8 v[180:183], a[154:155], a[98:99], v[180:183]// 00000000BC00: D3D700B4 1ED2C59A
	v_mfma_i32_16x16x32_i8 v[180:183], a[156:157], a[100:101], v[180:183]// 00000000BC08: D3D700B4 1ED2C99C
	v_mfma_i32_16x16x32_i8 v[180:183], a[158:159], a[102:103], v[180:183]// 00000000BC10: D3D700B4 1ED2CD9E
	v_mfma_i32_16x16x32_i8 v[156:159], a[144:145], a[104:105], v[156:159]// 00000000BC18: D3D7009C 1E72D190
	s_add_u32 s60, 0x180, s80                                  // 00000000BC20: 803C50FF 00000180
	s_cmp_lt_u32 s60, s81                                      // 00000000BC28: BF0A513C
	s_cselect_b32 s57, s57, 0                                  // 00000000BC2C: 85398039
	v_mfma_i32_16x16x32_i8 v[156:159], a[146:147], a[106:107], v[156:159]// 00000000BC30: D3D7009C 1E72D592
	s_add_u32 s60, 0x100, s80                                  // 00000000BC38: 803C50FF 00000100
	s_cmp_lt_u32 s60, s81                                      // 00000000BC40: BF0A513C
	s_cselect_b32 s58, s58, 0                                  // 00000000BC44: 853A803A
	v_mfma_i32_16x16x32_i8 v[156:159], a[148:149], a[108:109], v[156:159]// 00000000BC48: D3D7009C 1E72D994
	s_add_u32 s60, 0x100, s80                                  // 00000000BC50: 803C50FF 00000100
	s_cmp_lt_u32 s60, s81                                      // 00000000BC58: BF0A513C
	s_cselect_b32 s83, s83, 0                                  // 00000000BC5C: 85538053
	v_mfma_i32_16x16x32_i8 v[156:159], a[150:151], a[110:111], v[156:159]// 00000000BC60: D3D7009C 1E72DD96
	s_add_u32 s24, s58, s24                                    // 00000000BC68: 8018183A
	s_addc_u32 s25, 0, s25                                     // 00000000BC6C: 82191980
	v_mfma_i32_16x16x32_i8 v[184:187], a[152:153], a[104:105], v[184:187]// 00000000BC70: D3D700B8 1EE2D198
	s_add_u32 s20, s57, s20                                    // 00000000BC78: 80141439
	s_addc_u32 s21, 0, s21                                     // 00000000BC7C: 82151580
	v_mfma_i32_16x16x32_i8 v[184:187], a[154:155], a[106:107], v[184:187]// 00000000BC80: D3D700B8 1EE2D59A
	s_add_u32 s84, s83, s84                                    // 00000000BC88: 80545453
	s_addc_u32 s85, 0, s85                                     // 00000000BC8C: 82555580
	v_mfma_i32_16x16x32_i8 v[184:187], a[156:157], a[108:109], v[184:187]// 00000000BC90: D3D700B8 1EE2D99C
	v_mfma_i32_16x16x32_i8 v[184:187], a[158:159], a[110:111], v[184:187]// 00000000BC98: D3D700B8 1EE2DD9E
	s_addk_i32 s80, 0x80                                       // 00000000BCA0: B7500080
	s_cmp_lt_i32 s80, s81                                      // 00000000BCA4: BF045150
	s_cbranch_scc0 label_24AF                                  // 00000000BCA8: BF840001
	s_branch label_1C8C                                        // 00000000BCAC: BF82F7DD

000000000000bcb0 <label_24AF>:
	v_cvt_f32_i32_e32 v76, v76                                 // 00000000BCB0: 7E980B4C
	v_cvt_f32_i32_e32 v77, v77                                 // 00000000BCB4: 7E9A0B4D
	v_cvt_f32_i32_e32 v78, v78                                 // 00000000BCB8: 7E9C0B4E
	v_cvt_f32_i32_e32 v79, v79                                 // 00000000BCBC: 7E9E0B4F
	v_mul_f32_dpp v76, v24, v76 row_newbcast:0 row_mask:0xf bank_mask:0xf// 00000000BCC0: 0A9898FA FF015018
	v_mul_f32_dpp v77, v24, v77 row_newbcast:1 row_mask:0xf bank_mask:0xf// 00000000BCC8: 0A9A9AFA FF015118
	v_mul_f32_dpp v78, v24, v78 row_newbcast:2 row_mask:0xf bank_mask:0xf// 00000000BCD0: 0A9C9CFA FF015218
	v_mul_f32_dpp v79, v24, v79 row_newbcast:3 row_mask:0xf bank_mask:0xf// 00000000BCD8: 0A9E9EFA FF015318
	v_cvt_f32_i32_e32 v80, v80                                 // 00000000BCE0: 7EA00B50
	v_cvt_f32_i32_e32 v81, v81                                 // 00000000BCE4: 7EA20B51
	v_cvt_f32_i32_e32 v82, v82                                 // 00000000BCE8: 7EA40B52
	v_cvt_f32_i32_e32 v83, v83                                 // 00000000BCEC: 7EA60B53
	v_mul_f32_dpp v80, v24, v80 row_newbcast:0 row_mask:0xf bank_mask:0xf// 00000000BCF0: 0AA0A0FA FF015018
	v_mul_f32_dpp v81, v24, v81 row_newbcast:1 row_mask:0xf bank_mask:0xf// 00000000BCF8: 0AA2A2FA FF015118
	v_mul_f32_dpp v82, v24, v82 row_newbcast:2 row_mask:0xf bank_mask:0xf// 00000000BD00: 0AA4A4FA FF015218
	v_mul_f32_dpp v83, v24, v83 row_newbcast:3 row_mask:0xf bank_mask:0xf// 00000000BD08: 0AA6A6FA FF015318
	v_cvt_f32_i32_e32 v84, v84                                 // 00000000BD10: 7EA80B54
	v_cvt_f32_i32_e32 v85, v85                                 // 00000000BD14: 7EAA0B55
	v_cvt_f32_i32_e32 v86, v86                                 // 00000000BD18: 7EAC0B56
	v_cvt_f32_i32_e32 v87, v87                                 // 00000000BD1C: 7EAE0B57
	v_mul_f32_dpp v84, v24, v84 row_newbcast:0 row_mask:0xf bank_mask:0xf// 00000000BD20: 0AA8A8FA FF015018
	v_mul_f32_dpp v85, v24, v85 row_newbcast:1 row_mask:0xf bank_mask:0xf// 00000000BD28: 0AAAAAFA FF015118
	v_mul_f32_dpp v86, v24, v86 row_newbcast:2 row_mask:0xf bank_mask:0xf// 00000000BD30: 0AACACFA FF015218
	v_mul_f32_dpp v87, v24, v87 row_newbcast:3 row_mask:0xf bank_mask:0xf// 00000000BD38: 0AAEAEFA FF015318
	v_cvt_f32_i32_e32 v88, v88                                 // 00000000BD40: 7EB00B58
	v_cvt_f32_i32_e32 v89, v89                                 // 00000000BD44: 7EB20B59
	v_cvt_f32_i32_e32 v90, v90                                 // 00000000BD48: 7EB40B5A
	v_cvt_f32_i32_e32 v91, v91                                 // 00000000BD4C: 7EB60B5B
	v_mul_f32_dpp v88, v24, v88 row_newbcast:0 row_mask:0xf bank_mask:0xf// 00000000BD50: 0AB0B0FA FF015018
	v_mul_f32_dpp v89, v24, v89 row_newbcast:1 row_mask:0xf bank_mask:0xf// 00000000BD58: 0AB2B2FA FF015118
	v_mul_f32_dpp v90, v24, v90 row_newbcast:2 row_mask:0xf bank_mask:0xf// 00000000BD60: 0AB4B4FA FF015218
	v_mul_f32_dpp v91, v24, v91 row_newbcast:3 row_mask:0xf bank_mask:0xf// 00000000BD68: 0AB6B6FA FF015318
	v_cvt_f32_i32_e32 v92, v92                                 // 00000000BD70: 7EB80B5C
	v_cvt_f32_i32_e32 v93, v93                                 // 00000000BD74: 7EBA0B5D
	v_cvt_f32_i32_e32 v94, v94                                 // 00000000BD78: 7EBC0B5E
	v_cvt_f32_i32_e32 v95, v95                                 // 00000000BD7C: 7EBE0B5F
	v_mul_f32_dpp v92, v24, v92 row_newbcast:0 row_mask:0xf bank_mask:0xf// 00000000BD80: 0AB8B8FA FF015018
	v_mul_f32_dpp v93, v24, v93 row_newbcast:1 row_mask:0xf bank_mask:0xf// 00000000BD88: 0ABABAFA FF015118
	v_mul_f32_dpp v94, v24, v94 row_newbcast:2 row_mask:0xf bank_mask:0xf// 00000000BD90: 0ABCBCFA FF015218
	v_mul_f32_dpp v95, v24, v95 row_newbcast:3 row_mask:0xf bank_mask:0xf// 00000000BD98: 0ABEBEFA FF015318
	v_cvt_f32_i32_e32 v96, v96                                 // 00000000BDA0: 7EC00B60
	v_cvt_f32_i32_e32 v97, v97                                 // 00000000BDA4: 7EC20B61
	v_cvt_f32_i32_e32 v98, v98                                 // 00000000BDA8: 7EC40B62
	v_cvt_f32_i32_e32 v99, v99                                 // 00000000BDAC: 7EC60B63
	v_mul_f32_dpp v96, v24, v96 row_newbcast:0 row_mask:0xf bank_mask:0xf// 00000000BDB0: 0AC0C0FA FF015018
	v_mul_f32_dpp v97, v24, v97 row_newbcast:1 row_mask:0xf bank_mask:0xf// 00000000BDB8: 0AC2C2FA FF015118
	v_mul_f32_dpp v98, v24, v98 row_newbcast:2 row_mask:0xf bank_mask:0xf// 00000000BDC0: 0AC4C4FA FF015218
	v_mul_f32_dpp v99, v24, v99 row_newbcast:3 row_mask:0xf bank_mask:0xf// 00000000BDC8: 0AC6C6FA FF015318
	v_cvt_f32_i32_e32 v100, v100                               // 00000000BDD0: 7EC80B64
	v_cvt_f32_i32_e32 v101, v101                               // 00000000BDD4: 7ECA0B65
	v_cvt_f32_i32_e32 v102, v102                               // 00000000BDD8: 7ECC0B66
	v_cvt_f32_i32_e32 v103, v103                               // 00000000BDDC: 7ECE0B67
	v_mul_f32_dpp v100, v24, v100 row_newbcast:0 row_mask:0xf bank_mask:0xf// 00000000BDE0: 0AC8C8FA FF015018
	v_mul_f32_dpp v101, v24, v101 row_newbcast:1 row_mask:0xf bank_mask:0xf// 00000000BDE8: 0ACACAFA FF015118
	v_mul_f32_dpp v102, v24, v102 row_newbcast:2 row_mask:0xf bank_mask:0xf// 00000000BDF0: 0ACCCCFA FF015218
	v_mul_f32_dpp v103, v24, v103 row_newbcast:3 row_mask:0xf bank_mask:0xf// 00000000BDF8: 0ACECEFA FF015318
	v_cvt_f32_i32_e32 v104, v104                               // 00000000BE00: 7ED00B68
	v_cvt_f32_i32_e32 v105, v105                               // 00000000BE04: 7ED20B69
	v_cvt_f32_i32_e32 v106, v106                               // 00000000BE08: 7ED40B6A
	v_cvt_f32_i32_e32 v107, v107                               // 00000000BE0C: 7ED60B6B
	v_mul_f32_dpp v104, v24, v104 row_newbcast:4 row_mask:0xf bank_mask:0xf// 00000000BE10: 0AD0D0FA FF015418
	v_mul_f32_dpp v105, v24, v105 row_newbcast:5 row_mask:0xf bank_mask:0xf// 00000000BE18: 0AD2D2FA FF015518
	v_mul_f32_dpp v106, v24, v106 row_newbcast:6 row_mask:0xf bank_mask:0xf// 00000000BE20: 0AD4D4FA FF015618
	v_mul_f32_dpp v107, v24, v107 row_newbcast:7 row_mask:0xf bank_mask:0xf// 00000000BE28: 0AD6D6FA FF015718
	v_cvt_f32_i32_e32 v108, v108                               // 00000000BE30: 7ED80B6C
	v_cvt_f32_i32_e32 v109, v109                               // 00000000BE34: 7EDA0B6D
	v_cvt_f32_i32_e32 v110, v110                               // 00000000BE38: 7EDC0B6E
	v_cvt_f32_i32_e32 v111, v111                               // 00000000BE3C: 7EDE0B6F
	v_mul_f32_dpp v108, v24, v108 row_newbcast:4 row_mask:0xf bank_mask:0xf// 00000000BE40: 0AD8D8FA FF015418
	v_mul_f32_dpp v109, v24, v109 row_newbcast:5 row_mask:0xf bank_mask:0xf// 00000000BE48: 0ADADAFA FF015518
	v_mul_f32_dpp v110, v24, v110 row_newbcast:6 row_mask:0xf bank_mask:0xf// 00000000BE50: 0ADCDCFA FF015618
	v_mul_f32_dpp v111, v24, v111 row_newbcast:7 row_mask:0xf bank_mask:0xf// 00000000BE58: 0ADEDEFA FF015718
	v_cvt_f32_i32_e32 v112, v112                               // 00000000BE60: 7EE00B70
	v_cvt_f32_i32_e32 v113, v113                               // 00000000BE64: 7EE20B71
	v_cvt_f32_i32_e32 v114, v114                               // 00000000BE68: 7EE40B72
	v_cvt_f32_i32_e32 v115, v115                               // 00000000BE6C: 7EE60B73
	v_mul_f32_dpp v112, v24, v112 row_newbcast:4 row_mask:0xf bank_mask:0xf// 00000000BE70: 0AE0E0FA FF015418
	v_mul_f32_dpp v113, v24, v113 row_newbcast:5 row_mask:0xf bank_mask:0xf// 00000000BE78: 0AE2E2FA FF015518
	v_mul_f32_dpp v114, v24, v114 row_newbcast:6 row_mask:0xf bank_mask:0xf// 00000000BE80: 0AE4E4FA FF015618
	v_mul_f32_dpp v115, v24, v115 row_newbcast:7 row_mask:0xf bank_mask:0xf// 00000000BE88: 0AE6E6FA FF015718
	v_cvt_f32_i32_e32 v116, v116                               // 00000000BE90: 7EE80B74
	v_cvt_f32_i32_e32 v117, v117                               // 00000000BE94: 7EEA0B75
	v_cvt_f32_i32_e32 v118, v118                               // 00000000BE98: 7EEC0B76
	v_cvt_f32_i32_e32 v119, v119                               // 00000000BE9C: 7EEE0B77
	v_mul_f32_dpp v116, v24, v116 row_newbcast:4 row_mask:0xf bank_mask:0xf// 00000000BEA0: 0AE8E8FA FF015418
	v_mul_f32_dpp v117, v24, v117 row_newbcast:5 row_mask:0xf bank_mask:0xf// 00000000BEA8: 0AEAEAFA FF015518
	v_mul_f32_dpp v118, v24, v118 row_newbcast:6 row_mask:0xf bank_mask:0xf// 00000000BEB0: 0AECECFA FF015618
	v_mul_f32_dpp v119, v24, v119 row_newbcast:7 row_mask:0xf bank_mask:0xf// 00000000BEB8: 0AEEEEFA FF015718
	v_cvt_f32_i32_e32 v120, v120                               // 00000000BEC0: 7EF00B78
	v_cvt_f32_i32_e32 v121, v121                               // 00000000BEC4: 7EF20B79
	v_cvt_f32_i32_e32 v122, v122                               // 00000000BEC8: 7EF40B7A
	v_cvt_f32_i32_e32 v123, v123                               // 00000000BECC: 7EF60B7B
	v_mul_f32_dpp v120, v24, v120 row_newbcast:4 row_mask:0xf bank_mask:0xf// 00000000BED0: 0AF0F0FA FF015418
	v_mul_f32_dpp v121, v24, v121 row_newbcast:5 row_mask:0xf bank_mask:0xf// 00000000BED8: 0AF2F2FA FF015518
	v_mul_f32_dpp v122, v24, v122 row_newbcast:6 row_mask:0xf bank_mask:0xf// 00000000BEE0: 0AF4F4FA FF015618
	v_mul_f32_dpp v123, v24, v123 row_newbcast:7 row_mask:0xf bank_mask:0xf// 00000000BEE8: 0AF6F6FA FF015718
	v_cvt_f32_i32_e32 v124, v124                               // 00000000BEF0: 7EF80B7C
	v_cvt_f32_i32_e32 v125, v125                               // 00000000BEF4: 7EFA0B7D
	v_cvt_f32_i32_e32 v126, v126                               // 00000000BEF8: 7EFC0B7E
	v_cvt_f32_i32_e32 v127, v127                               // 00000000BEFC: 7EFE0B7F
	v_mul_f32_dpp v124, v24, v124 row_newbcast:4 row_mask:0xf bank_mask:0xf// 00000000BF00: 0AF8F8FA FF015418
	v_mul_f32_dpp v125, v24, v125 row_newbcast:5 row_mask:0xf bank_mask:0xf// 00000000BF08: 0AFAFAFA FF015518
	v_mul_f32_dpp v126, v24, v126 row_newbcast:6 row_mask:0xf bank_mask:0xf// 00000000BF10: 0AFCFCFA FF015618
	v_mul_f32_dpp v127, v24, v127 row_newbcast:7 row_mask:0xf bank_mask:0xf// 00000000BF18: 0AFEFEFA FF015718
	v_cvt_f32_i32_e32 v128, v128                               // 00000000BF20: 7F000B80
	v_cvt_f32_i32_e32 v129, v129                               // 00000000BF24: 7F020B81
	v_cvt_f32_i32_e32 v130, v130                               // 00000000BF28: 7F040B82
	v_cvt_f32_i32_e32 v131, v131                               // 00000000BF2C: 7F060B83
	v_mul_f32_dpp v128, v24, v128 row_newbcast:4 row_mask:0xf bank_mask:0xf// 00000000BF30: 0B0100FA FF015418
	v_mul_f32_dpp v129, v24, v129 row_newbcast:5 row_mask:0xf bank_mask:0xf// 00000000BF38: 0B0302FA FF015518
	v_mul_f32_dpp v130, v24, v130 row_newbcast:6 row_mask:0xf bank_mask:0xf// 00000000BF40: 0B0504FA FF015618
	v_mul_f32_dpp v131, v24, v131 row_newbcast:7 row_mask:0xf bank_mask:0xf// 00000000BF48: 0B0706FA FF015718
	v_cvt_f32_i32_e32 v132, v132                               // 00000000BF50: 7F080B84
	v_cvt_f32_i32_e32 v133, v133                               // 00000000BF54: 7F0A0B85
	v_cvt_f32_i32_e32 v134, v134                               // 00000000BF58: 7F0C0B86
	v_cvt_f32_i32_e32 v135, v135                               // 00000000BF5C: 7F0E0B87
	v_mul_f32_dpp v132, v27, v132 row_newbcast:0 row_mask:0xf bank_mask:0xf// 00000000BF60: 0B0908FA FF01501B
	v_mul_f32_dpp v133, v27, v133 row_newbcast:1 row_mask:0xf bank_mask:0xf// 00000000BF68: 0B0B0AFA FF01511B
	v_mul_f32_dpp v134, v27, v134 row_newbcast:2 row_mask:0xf bank_mask:0xf// 00000000BF70: 0B0D0CFA FF01521B
	v_mul_f32_dpp v135, v27, v135 row_newbcast:3 row_mask:0xf bank_mask:0xf// 00000000BF78: 0B0F0EFA FF01531B
	v_cvt_f32_i32_e32 v136, v136                               // 00000000BF80: 7F100B88
	v_cvt_f32_i32_e32 v137, v137                               // 00000000BF84: 7F120B89
	v_cvt_f32_i32_e32 v138, v138                               // 00000000BF88: 7F140B8A
	v_cvt_f32_i32_e32 v139, v139                               // 00000000BF8C: 7F160B8B
	v_mul_f32_dpp v136, v27, v136 row_newbcast:0 row_mask:0xf bank_mask:0xf// 00000000BF90: 0B1110FA FF01501B
	v_mul_f32_dpp v137, v27, v137 row_newbcast:1 row_mask:0xf bank_mask:0xf// 00000000BF98: 0B1312FA FF01511B
	v_mul_f32_dpp v138, v27, v138 row_newbcast:2 row_mask:0xf bank_mask:0xf// 00000000BFA0: 0B1514FA FF01521B
	v_mul_f32_dpp v139, v27, v139 row_newbcast:3 row_mask:0xf bank_mask:0xf// 00000000BFA8: 0B1716FA FF01531B
	v_cvt_f32_i32_e32 v140, v140                               // 00000000BFB0: 7F180B8C
	v_cvt_f32_i32_e32 v141, v141                               // 00000000BFB4: 7F1A0B8D
	v_cvt_f32_i32_e32 v142, v142                               // 00000000BFB8: 7F1C0B8E
	v_cvt_f32_i32_e32 v143, v143                               // 00000000BFBC: 7F1E0B8F
	v_mul_f32_dpp v140, v27, v140 row_newbcast:0 row_mask:0xf bank_mask:0xf// 00000000BFC0: 0B1918FA FF01501B
	v_mul_f32_dpp v141, v27, v141 row_newbcast:1 row_mask:0xf bank_mask:0xf// 00000000BFC8: 0B1B1AFA FF01511B
	v_mul_f32_dpp v142, v27, v142 row_newbcast:2 row_mask:0xf bank_mask:0xf// 00000000BFD0: 0B1D1CFA FF01521B
	v_mul_f32_dpp v143, v27, v143 row_newbcast:3 row_mask:0xf bank_mask:0xf// 00000000BFD8: 0B1F1EFA FF01531B
	v_cvt_f32_i32_e32 v144, v144                               // 00000000BFE0: 7F200B90
	v_cvt_f32_i32_e32 v145, v145                               // 00000000BFE4: 7F220B91
	v_cvt_f32_i32_e32 v146, v146                               // 00000000BFE8: 7F240B92
	v_cvt_f32_i32_e32 v147, v147                               // 00000000BFEC: 7F260B93
	v_mul_f32_dpp v144, v27, v144 row_newbcast:0 row_mask:0xf bank_mask:0xf// 00000000BFF0: 0B2120FA FF01501B
	v_mul_f32_dpp v145, v27, v145 row_newbcast:1 row_mask:0xf bank_mask:0xf// 00000000BFF8: 0B2322FA FF01511B
	v_mul_f32_dpp v146, v27, v146 row_newbcast:2 row_mask:0xf bank_mask:0xf// 00000000C000: 0B2524FA FF01521B
	v_mul_f32_dpp v147, v27, v147 row_newbcast:3 row_mask:0xf bank_mask:0xf// 00000000C008: 0B2726FA FF01531B
	v_cvt_f32_i32_e32 v148, v148                               // 00000000C010: 7F280B94
	v_cvt_f32_i32_e32 v149, v149                               // 00000000C014: 7F2A0B95
	v_cvt_f32_i32_e32 v150, v150                               // 00000000C018: 7F2C0B96
	v_cvt_f32_i32_e32 v151, v151                               // 00000000C01C: 7F2E0B97
	v_mul_f32_dpp v148, v27, v148 row_newbcast:0 row_mask:0xf bank_mask:0xf// 00000000C020: 0B2928FA FF01501B
	v_mul_f32_dpp v149, v27, v149 row_newbcast:1 row_mask:0xf bank_mask:0xf// 00000000C028: 0B2B2AFA FF01511B
	v_mul_f32_dpp v150, v27, v150 row_newbcast:2 row_mask:0xf bank_mask:0xf// 00000000C030: 0B2D2CFA FF01521B
	v_mul_f32_dpp v151, v27, v151 row_newbcast:3 row_mask:0xf bank_mask:0xf// 00000000C038: 0B2F2EFA FF01531B
	v_cvt_f32_i32_e32 v152, v152                               // 00000000C040: 7F300B98
	v_cvt_f32_i32_e32 v153, v153                               // 00000000C044: 7F320B99
	v_cvt_f32_i32_e32 v154, v154                               // 00000000C048: 7F340B9A
	v_cvt_f32_i32_e32 v155, v155                               // 00000000C04C: 7F360B9B
	v_mul_f32_dpp v152, v27, v152 row_newbcast:0 row_mask:0xf bank_mask:0xf// 00000000C050: 0B3130FA FF01501B
	v_mul_f32_dpp v153, v27, v153 row_newbcast:1 row_mask:0xf bank_mask:0xf// 00000000C058: 0B3332FA FF01511B
	v_mul_f32_dpp v154, v27, v154 row_newbcast:2 row_mask:0xf bank_mask:0xf// 00000000C060: 0B3534FA FF01521B
	v_mul_f32_dpp v155, v27, v155 row_newbcast:3 row_mask:0xf bank_mask:0xf// 00000000C068: 0B3736FA FF01531B
	v_cvt_f32_i32_e32 v156, v156                               // 00000000C070: 7F380B9C
	v_cvt_f32_i32_e32 v157, v157                               // 00000000C074: 7F3A0B9D
	v_cvt_f32_i32_e32 v158, v158                               // 00000000C078: 7F3C0B9E
	v_cvt_f32_i32_e32 v159, v159                               // 00000000C07C: 7F3E0B9F
	v_mul_f32_dpp v156, v27, v156 row_newbcast:0 row_mask:0xf bank_mask:0xf// 00000000C080: 0B3938FA FF01501B
	v_mul_f32_dpp v157, v27, v157 row_newbcast:1 row_mask:0xf bank_mask:0xf// 00000000C088: 0B3B3AFA FF01511B
	v_mul_f32_dpp v158, v27, v158 row_newbcast:2 row_mask:0xf bank_mask:0xf// 00000000C090: 0B3D3CFA FF01521B
	v_mul_f32_dpp v159, v27, v159 row_newbcast:3 row_mask:0xf bank_mask:0xf// 00000000C098: 0B3F3EFA FF01531B
	v_cvt_f32_i32_e32 v160, v160                               // 00000000C0A0: 7F400BA0
	v_cvt_f32_i32_e32 v161, v161                               // 00000000C0A4: 7F420BA1
	v_cvt_f32_i32_e32 v162, v162                               // 00000000C0A8: 7F440BA2
	v_cvt_f32_i32_e32 v163, v163                               // 00000000C0AC: 7F460BA3
	v_mul_f32_dpp v160, v27, v160 row_newbcast:4 row_mask:0xf bank_mask:0xf// 00000000C0B0: 0B4140FA FF01541B
	v_mul_f32_dpp v161, v27, v161 row_newbcast:5 row_mask:0xf bank_mask:0xf// 00000000C0B8: 0B4342FA FF01551B
	v_mul_f32_dpp v162, v27, v162 row_newbcast:6 row_mask:0xf bank_mask:0xf// 00000000C0C0: 0B4544FA FF01561B
	v_mul_f32_dpp v163, v27, v163 row_newbcast:7 row_mask:0xf bank_mask:0xf// 00000000C0C8: 0B4746FA FF01571B
	v_cvt_f32_i32_e32 v164, v164                               // 00000000C0D0: 7F480BA4
	v_cvt_f32_i32_e32 v165, v165                               // 00000000C0D4: 7F4A0BA5
	v_cvt_f32_i32_e32 v166, v166                               // 00000000C0D8: 7F4C0BA6
	v_cvt_f32_i32_e32 v167, v167                               // 00000000C0DC: 7F4E0BA7
	v_mul_f32_dpp v164, v27, v164 row_newbcast:4 row_mask:0xf bank_mask:0xf// 00000000C0E0: 0B4948FA FF01541B
	v_mul_f32_dpp v165, v27, v165 row_newbcast:5 row_mask:0xf bank_mask:0xf// 00000000C0E8: 0B4B4AFA FF01551B
	v_mul_f32_dpp v166, v27, v166 row_newbcast:6 row_mask:0xf bank_mask:0xf// 00000000C0F0: 0B4D4CFA FF01561B
	v_mul_f32_dpp v167, v27, v167 row_newbcast:7 row_mask:0xf bank_mask:0xf// 00000000C0F8: 0B4F4EFA FF01571B
	v_cvt_f32_i32_e32 v168, v168                               // 00000000C100: 7F500BA8
	v_cvt_f32_i32_e32 v169, v169                               // 00000000C104: 7F520BA9
	v_cvt_f32_i32_e32 v170, v170                               // 00000000C108: 7F540BAA
	v_cvt_f32_i32_e32 v171, v171                               // 00000000C10C: 7F560BAB
	v_mul_f32_dpp v168, v27, v168 row_newbcast:4 row_mask:0xf bank_mask:0xf// 00000000C110: 0B5150FA FF01541B
	v_mul_f32_dpp v169, v27, v169 row_newbcast:5 row_mask:0xf bank_mask:0xf// 00000000C118: 0B5352FA FF01551B
	v_mul_f32_dpp v170, v27, v170 row_newbcast:6 row_mask:0xf bank_mask:0xf// 00000000C120: 0B5554FA FF01561B
	v_mul_f32_dpp v171, v27, v171 row_newbcast:7 row_mask:0xf bank_mask:0xf// 00000000C128: 0B5756FA FF01571B
	v_cvt_f32_i32_e32 v172, v172                               // 00000000C130: 7F580BAC
	v_cvt_f32_i32_e32 v173, v173                               // 00000000C134: 7F5A0BAD
	v_cvt_f32_i32_e32 v174, v174                               // 00000000C138: 7F5C0BAE
	v_cvt_f32_i32_e32 v175, v175                               // 00000000C13C: 7F5E0BAF
	v_mul_f32_dpp v172, v27, v172 row_newbcast:4 row_mask:0xf bank_mask:0xf// 00000000C140: 0B5958FA FF01541B
	v_mul_f32_dpp v173, v27, v173 row_newbcast:5 row_mask:0xf bank_mask:0xf// 00000000C148: 0B5B5AFA FF01551B
	v_mul_f32_dpp v174, v27, v174 row_newbcast:6 row_mask:0xf bank_mask:0xf// 00000000C150: 0B5D5CFA FF01561B
	v_mul_f32_dpp v175, v27, v175 row_newbcast:7 row_mask:0xf bank_mask:0xf// 00000000C158: 0B5F5EFA FF01571B
	v_cvt_f32_i32_e32 v176, v176                               // 00000000C160: 7F600BB0
	v_cvt_f32_i32_e32 v177, v177                               // 00000000C164: 7F620BB1
	v_cvt_f32_i32_e32 v178, v178                               // 00000000C168: 7F640BB2
	v_cvt_f32_i32_e32 v179, v179                               // 00000000C16C: 7F660BB3
	v_mul_f32_dpp v176, v27, v176 row_newbcast:4 row_mask:0xf bank_mask:0xf// 00000000C170: 0B6160FA FF01541B
	v_mul_f32_dpp v177, v27, v177 row_newbcast:5 row_mask:0xf bank_mask:0xf// 00000000C178: 0B6362FA FF01551B
	v_mul_f32_dpp v178, v27, v178 row_newbcast:6 row_mask:0xf bank_mask:0xf// 00000000C180: 0B6564FA FF01561B
	v_mul_f32_dpp v179, v27, v179 row_newbcast:7 row_mask:0xf bank_mask:0xf// 00000000C188: 0B6766FA FF01571B
	v_cvt_f32_i32_e32 v180, v180                               // 00000000C190: 7F680BB4
	v_cvt_f32_i32_e32 v181, v181                               // 00000000C194: 7F6A0BB5
	v_cvt_f32_i32_e32 v182, v182                               // 00000000C198: 7F6C0BB6
	v_cvt_f32_i32_e32 v183, v183                               // 00000000C19C: 7F6E0BB7
	v_mul_f32_dpp v180, v27, v180 row_newbcast:4 row_mask:0xf bank_mask:0xf// 00000000C1A0: 0B6968FA FF01541B
	v_mul_f32_dpp v181, v27, v181 row_newbcast:5 row_mask:0xf bank_mask:0xf// 00000000C1A8: 0B6B6AFA FF01551B
	v_mul_f32_dpp v182, v27, v182 row_newbcast:6 row_mask:0xf bank_mask:0xf// 00000000C1B0: 0B6D6CFA FF01561B
	v_mul_f32_dpp v183, v27, v183 row_newbcast:7 row_mask:0xf bank_mask:0xf// 00000000C1B8: 0B6F6EFA FF01571B
	v_cvt_f32_i32_e32 v184, v184                               // 00000000C1C0: 7F700BB8
	v_cvt_f32_i32_e32 v185, v185                               // 00000000C1C4: 7F720BB9
	v_cvt_f32_i32_e32 v186, v186                               // 00000000C1C8: 7F740BBA
	v_cvt_f32_i32_e32 v187, v187                               // 00000000C1CC: 7F760BBB
	v_mul_f32_dpp v184, v27, v184 row_newbcast:4 row_mask:0xf bank_mask:0xf// 00000000C1D0: 0B7170FA FF01541B
	v_mul_f32_dpp v185, v27, v185 row_newbcast:5 row_mask:0xf bank_mask:0xf// 00000000C1D8: 0B7372FA FF01551B
	v_mul_f32_dpp v186, v27, v186 row_newbcast:6 row_mask:0xf bank_mask:0xf// 00000000C1E0: 0B7574FA FF01561B
	v_mul_f32_dpp v187, v27, v187 row_newbcast:7 row_mask:0xf bank_mask:0xf// 00000000C1E8: 0B7776FA FF01571B
	v_mov_b32_e32 v4, v37                                      // 00000000C1F0: 7E080325
	v_mov_b32_e32 v5, v4                                       // 00000000C1F4: 7E0A0304
	v_pk_mul_f32 v[76:77], v[4:5], v[76:77]                    // 00000000C1F8: D3B1404C 18029904
	v_pk_mul_f32 v[132:133], v[4:5], v[132:133]                // 00000000C200: D3B14084 18030904
	v_pk_mul_f32 v[78:79], v[4:5], v[78:79]                    // 00000000C208: D3B1404E 18029D04
	v_pk_mul_f32 v[134:135], v[4:5], v[134:135]                // 00000000C210: D3B14086 18030D04
	v_pk_mul_f32 v[104:105], v[4:5], v[104:105]                // 00000000C218: D3B14068 1802D104
	v_pk_mul_f32 v[160:161], v[4:5], v[160:161]                // 00000000C220: D3B140A0 18034104
	v_pk_mul_f32 v[106:107], v[4:5], v[106:107]                // 00000000C228: D3B1406A 1802D504
	v_pk_mul_f32 v[162:163], v[4:5], v[162:163]                // 00000000C230: D3B140A2 18034504
	v_mov_b32_e32 v4, v38                                      // 00000000C238: 7E080326
	v_mov_b32_e32 v5, v4                                       // 00000000C23C: 7E0A0304
	v_pk_mul_f32 v[80:81], v[4:5], v[80:81]                    // 00000000C240: D3B14050 1802A104
	v_pk_mul_f32 v[136:137], v[4:5], v[136:137]                // 00000000C248: D3B14088 18031104
	v_pk_mul_f32 v[82:83], v[4:5], v[82:83]                    // 00000000C250: D3B14052 1802A504
	v_pk_mul_f32 v[138:139], v[4:5], v[138:139]                // 00000000C258: D3B1408A 18031504
	v_pk_mul_f32 v[108:109], v[4:5], v[108:109]                // 00000000C260: D3B1406C 1802D904
	v_pk_mul_f32 v[164:165], v[4:5], v[164:165]                // 00000000C268: D3B140A4 18034904
	v_pk_mul_f32 v[110:111], v[4:5], v[110:111]                // 00000000C270: D3B1406E 1802DD04
	v_pk_mul_f32 v[166:167], v[4:5], v[166:167]                // 00000000C278: D3B140A6 18034D04
	v_mov_b32_e32 v4, v39                                      // 00000000C280: 7E080327
	v_mov_b32_e32 v5, v4                                       // 00000000C284: 7E0A0304
	v_pk_mul_f32 v[84:85], v[4:5], v[84:85]                    // 00000000C288: D3B14054 1802A904
	v_pk_mul_f32 v[140:141], v[4:5], v[140:141]                // 00000000C290: D3B1408C 18031904
	v_pk_mul_f32 v[86:87], v[4:5], v[86:87]                    // 00000000C298: D3B14056 1802AD04
	v_pk_mul_f32 v[142:143], v[4:5], v[142:143]                // 00000000C2A0: D3B1408E 18031D04
	v_pk_mul_f32 v[112:113], v[4:5], v[112:113]                // 00000000C2A8: D3B14070 1802E104
	v_pk_mul_f32 v[168:169], v[4:5], v[168:169]                // 00000000C2B0: D3B140A8 18035104
	v_pk_mul_f32 v[114:115], v[4:5], v[114:115]                // 00000000C2B8: D3B14072 1802E504
	v_pk_mul_f32 v[170:171], v[4:5], v[170:171]                // 00000000C2C0: D3B140AA 18035504
	v_mov_b32_e32 v4, v40                                      // 00000000C2C8: 7E080328
	v_mov_b32_e32 v5, v4                                       // 00000000C2CC: 7E0A0304
	v_pk_mul_f32 v[88:89], v[4:5], v[88:89]                    // 00000000C2D0: D3B14058 1802B104
	v_pk_mul_f32 v[144:145], v[4:5], v[144:145]                // 00000000C2D8: D3B14090 18032104
	v_pk_mul_f32 v[90:91], v[4:5], v[90:91]                    // 00000000C2E0: D3B1405A 1802B504
	v_pk_mul_f32 v[146:147], v[4:5], v[146:147]                // 00000000C2E8: D3B14092 18032504
	v_pk_mul_f32 v[116:117], v[4:5], v[116:117]                // 00000000C2F0: D3B14074 1802E904
	v_pk_mul_f32 v[172:173], v[4:5], v[172:173]                // 00000000C2F8: D3B140AC 18035904
	v_pk_mul_f32 v[118:119], v[4:5], v[118:119]                // 00000000C300: D3B14076 1802ED04
	v_pk_mul_f32 v[174:175], v[4:5], v[174:175]                // 00000000C308: D3B140AE 18035D04
	v_mov_b32_e32 v4, v41                                      // 00000000C310: 7E080329
	v_mov_b32_e32 v5, v4                                       // 00000000C314: 7E0A0304
	v_pk_mul_f32 v[92:93], v[4:5], v[92:93]                    // 00000000C318: D3B1405C 1802B904
	v_pk_mul_f32 v[148:149], v[4:5], v[148:149]                // 00000000C320: D3B14094 18032904
	v_pk_mul_f32 v[94:95], v[4:5], v[94:95]                    // 00000000C328: D3B1405E 1802BD04
	v_pk_mul_f32 v[150:151], v[4:5], v[150:151]                // 00000000C330: D3B14096 18032D04
	v_pk_mul_f32 v[120:121], v[4:5], v[120:121]                // 00000000C338: D3B14078 1802F104
	v_pk_mul_f32 v[176:177], v[4:5], v[176:177]                // 00000000C340: D3B140B0 18036104
	v_pk_mul_f32 v[122:123], v[4:5], v[122:123]                // 00000000C348: D3B1407A 1802F504
	v_pk_mul_f32 v[178:179], v[4:5], v[178:179]                // 00000000C350: D3B140B2 18036504
	v_mov_b32_e32 v4, v42                                      // 00000000C358: 7E08032A
	v_mov_b32_e32 v5, v4                                       // 00000000C35C: 7E0A0304
	v_pk_mul_f32 v[96:97], v[4:5], v[96:97]                    // 00000000C360: D3B14060 1802C104
	v_pk_mul_f32 v[152:153], v[4:5], v[152:153]                // 00000000C368: D3B14098 18033104
	v_pk_mul_f32 v[98:99], v[4:5], v[98:99]                    // 00000000C370: D3B14062 1802C504
	v_pk_mul_f32 v[154:155], v[4:5], v[154:155]                // 00000000C378: D3B1409A 18033504
	v_pk_mul_f32 v[124:125], v[4:5], v[124:125]                // 00000000C380: D3B1407C 1802F904
	v_pk_mul_f32 v[180:181], v[4:5], v[180:181]                // 00000000C388: D3B140B4 18036904
	v_pk_mul_f32 v[126:127], v[4:5], v[126:127]                // 00000000C390: D3B1407E 1802FD04
	v_pk_mul_f32 v[182:183], v[4:5], v[182:183]                // 00000000C398: D3B140B6 18036D04
	v_mov_b32_e32 v4, v43                                      // 00000000C3A0: 7E08032B
	v_mov_b32_e32 v5, v4                                       // 00000000C3A4: 7E0A0304
	v_pk_mul_f32 v[100:101], v[4:5], v[100:101]                // 00000000C3A8: D3B14064 1802C904
	v_pk_mul_f32 v[156:157], v[4:5], v[156:157]                // 00000000C3B0: D3B1409C 18033904
	v_pk_mul_f32 v[102:103], v[4:5], v[102:103]                // 00000000C3B8: D3B14066 1802CD04
	v_pk_mul_f32 v[158:159], v[4:5], v[158:159]                // 00000000C3C0: D3B1409E 18033D04
	v_pk_mul_f32 v[128:129], v[4:5], v[128:129]                // 00000000C3C8: D3B14080 18030104
	v_pk_mul_f32 v[184:185], v[4:5], v[184:185]                // 00000000C3D0: D3B140B8 18037104
	v_pk_mul_f32 v[130:131], v[4:5], v[130:131]                // 00000000C3D8: D3B14082 18030504
	v_pk_mul_f32 v[186:187], v[4:5], v[186:187]                // 00000000C3E0: D3B140BA 18037504
	s_cmp_eq_u32 s88, 0                                        // 00000000C3E8: BF068058
	s_cbranch_scc0 label_2EB8                                  // 00000000C3EC: BF840839
	s_cmp_eq_u32 s89, 0                                        // 00000000C3F0: BF068059
	s_cbranch_scc1 label_28B6                                  // 00000000C3F4: BF850235
	v_mov_b32_e32 v8, v1                                       // 00000000C3F8: 7E100301
	v_mov_b32_e32 v9, v1                                       // 00000000C3FC: 7E120301
	s_mov_b32 s60, s6                                          // 00000000C400: BEBC0006
	s_mov_b32 s61, s6                                          // 00000000C404: BEBD0006
	v_pk_mul_f32 v[4:5], v[76:77], v[76:77]                    // 00000000C408: D3B14004 1802994C
	v_pk_mul_f32 v[6:7], v[78:79], v[78:79]                    // 00000000C410: D3B14006 18029D4E
	v_pk_fma_f32 v[4:5], v[4:5], s[78:79], v[8:9]              // 00000000C418: D3B04004 1C209D04
	v_pk_fma_f32 v[6:7], v[6:7], s[78:79], v[8:9]              // 00000000C420: D3B04006 1C209D06
	v_pk_mul_f32 v[4:5], v[4:5], v[76:77]                      // 00000000C428: D3B14004 18029904
	v_pk_mul_f32 v[6:7], v[6:7], v[78:79]                      // 00000000C430: D3B14006 18029D06
	v_pk_mul_f32 v[4:5], v[4:5], s[60:61]                      // 00000000C438: D3B14004 18007904
	v_pk_mul_f32 v[6:7], v[6:7], s[60:61]                      // 00000000C440: D3B14006 18007906
	v_exp_f32_e32 v4, v4                                       // 00000000C448: 7E084104
	v_exp_f32_e32 v5, v5                                       // 00000000C44C: 7E0A4105
	v_exp_f32_e32 v6, v6                                       // 00000000C450: 7E0C4106
	v_exp_f32_e32 v7, v7                                       // 00000000C454: 7E0E4107
	v_add_f32_e64 v4, v4, 1.0                                  // 00000000C458: D1010004 0001E504
	v_add_f32_e64 v5, v5, 1.0                                  // 00000000C460: D1010005 0001E505
	v_add_f32_e64 v6, v6, 1.0                                  // 00000000C468: D1010006 0001E506
	v_add_f32_e64 v7, v7, 1.0                                  // 00000000C470: D1010007 0001E507
	v_rcp_f32_e32 v4, v4                                       // 00000000C478: 7E084504
	v_rcp_f32_e32 v5, v5                                       // 00000000C47C: 7E0A4505
	v_rcp_f32_e32 v6, v6                                       // 00000000C480: 7E0C4506
	v_rcp_f32_e32 v7, v7                                       // 00000000C484: 7E0E4507
	v_mul_f32_e32 v76, v76, v4                                 // 00000000C488: 0A98094C
	v_mul_f32_e32 v77, v77, v5                                 // 00000000C48C: 0A9A0B4D
	v_mul_f32_e32 v78, v78, v6                                 // 00000000C490: 0A9C0D4E
	v_mul_f32_e32 v79, v79, v7                                 // 00000000C494: 0A9E0F4F
	v_mul_f32_e32 v76, v76, v132                               // 00000000C498: 0A99094C
	v_mul_f32_e32 v77, v77, v133                               // 00000000C49C: 0A9B0B4D
	v_mul_f32_e32 v78, v78, v134                               // 00000000C4A0: 0A9D0D4E
	v_mul_f32_e32 v79, v79, v135                               // 00000000C4A4: 0A9F0F4F
	v_pk_mul_f32 v[4:5], v[80:81], v[80:81]                    // 00000000C4A8: D3B14004 1802A150
	v_pk_mul_f32 v[6:7], v[82:83], v[82:83]                    // 00000000C4B0: D3B14006 1802A552
	v_pk_fma_f32 v[4:5], v[4:5], s[78:79], v[8:9]              // 00000000C4B8: D3B04004 1C209D04
	v_pk_fma_f32 v[6:7], v[6:7], s[78:79], v[8:9]              // 00000000C4C0: D3B04006 1C209D06
	v_pk_mul_f32 v[4:5], v[4:5], v[80:81]                      // 00000000C4C8: D3B14004 1802A104
	v_pk_mul_f32 v[6:7], v[6:7], v[82:83]                      // 00000000C4D0: D3B14006 1802A506
	v_pk_mul_f32 v[4:5], v[4:5], s[60:61]                      // 00000000C4D8: D3B14004 18007904
	v_pk_mul_f32 v[6:7], v[6:7], s[60:61]                      // 00000000C4E0: D3B14006 18007906
	v_exp_f32_e32 v4, v4                                       // 00000000C4E8: 7E084104
	v_exp_f32_e32 v5, v5                                       // 00000000C4EC: 7E0A4105
	v_exp_f32_e32 v6, v6                                       // 00000000C4F0: 7E0C4106
	v_exp_f32_e32 v7, v7                                       // 00000000C4F4: 7E0E4107
	v_add_f32_e64 v4, v4, 1.0                                  // 00000000C4F8: D1010004 0001E504
	v_add_f32_e64 v5, v5, 1.0                                  // 00000000C500: D1010005 0001E505
	v_add_f32_e64 v6, v6, 1.0                                  // 00000000C508: D1010006 0001E506
	v_add_f32_e64 v7, v7, 1.0                                  // 00000000C510: D1010007 0001E507
	v_rcp_f32_e32 v4, v4                                       // 00000000C518: 7E084504
	v_rcp_f32_e32 v5, v5                                       // 00000000C51C: 7E0A4505
	v_rcp_f32_e32 v6, v6                                       // 00000000C520: 7E0C4506
	v_rcp_f32_e32 v7, v7                                       // 00000000C524: 7E0E4507
	v_mul_f32_e32 v80, v80, v4                                 // 00000000C528: 0AA00950
	v_mul_f32_e32 v81, v81, v5                                 // 00000000C52C: 0AA20B51
	v_mul_f32_e32 v82, v82, v6                                 // 00000000C530: 0AA40D52
	v_mul_f32_e32 v83, v83, v7                                 // 00000000C534: 0AA60F53
	v_mul_f32_e32 v80, v80, v136                               // 00000000C538: 0AA11150
	v_mul_f32_e32 v81, v81, v137                               // 00000000C53C: 0AA31351
	v_mul_f32_e32 v82, v82, v138                               // 00000000C540: 0AA51552
	v_mul_f32_e32 v83, v83, v139                               // 00000000C544: 0AA71753
	v_pk_mul_f32 v[4:5], v[84:85], v[84:85]                    // 00000000C548: D3B14004 1802A954
	v_pk_mul_f32 v[6:7], v[86:87], v[86:87]                    // 00000000C550: D3B14006 1802AD56
	v_pk_fma_f32 v[4:5], v[4:5], s[78:79], v[8:9]              // 00000000C558: D3B04004 1C209D04
	v_pk_fma_f32 v[6:7], v[6:7], s[78:79], v[8:9]              // 00000000C560: D3B04006 1C209D06
	v_pk_mul_f32 v[4:5], v[4:5], v[84:85]                      // 00000000C568: D3B14004 1802A904
	v_pk_mul_f32 v[6:7], v[6:7], v[86:87]                      // 00000000C570: D3B14006 1802AD06
	v_pk_mul_f32 v[4:5], v[4:5], s[60:61]                      // 00000000C578: D3B14004 18007904
	v_pk_mul_f32 v[6:7], v[6:7], s[60:61]                      // 00000000C580: D3B14006 18007906
	v_exp_f32_e32 v4, v4                                       // 00000000C588: 7E084104
	v_exp_f32_e32 v5, v5                                       // 00000000C58C: 7E0A4105
	v_exp_f32_e32 v6, v6                                       // 00000000C590: 7E0C4106
	v_exp_f32_e32 v7, v7                                       // 00000000C594: 7E0E4107
	v_add_f32_e64 v4, v4, 1.0                                  // 00000000C598: D1010004 0001E504
	v_add_f32_e64 v5, v5, 1.0                                  // 00000000C5A0: D1010005 0001E505
	v_add_f32_e64 v6, v6, 1.0                                  // 00000000C5A8: D1010006 0001E506
	v_add_f32_e64 v7, v7, 1.0                                  // 00000000C5B0: D1010007 0001E507
	v_rcp_f32_e32 v4, v4                                       // 00000000C5B8: 7E084504
	v_rcp_f32_e32 v5, v5                                       // 00000000C5BC: 7E0A4505
	v_rcp_f32_e32 v6, v6                                       // 00000000C5C0: 7E0C4506
	v_rcp_f32_e32 v7, v7                                       // 00000000C5C4: 7E0E4507
	v_mul_f32_e32 v84, v84, v4                                 // 00000000C5C8: 0AA80954
	v_mul_f32_e32 v85, v85, v5                                 // 00000000C5CC: 0AAA0B55
	v_mul_f32_e32 v86, v86, v6                                 // 00000000C5D0: 0AAC0D56
	v_mul_f32_e32 v87, v87, v7                                 // 00000000C5D4: 0AAE0F57
	v_mul_f32_e32 v84, v84, v140                               // 00000000C5D8: 0AA91954
	v_mul_f32_e32 v85, v85, v141                               // 00000000C5DC: 0AAB1B55
	v_mul_f32_e32 v86, v86, v142                               // 00000000C5E0: 0AAD1D56
	v_mul_f32_e32 v87, v87, v143                               // 00000000C5E4: 0AAF1F57
	v_pk_mul_f32 v[4:5], v[88:89], v[88:89]                    // 00000000C5E8: D3B14004 1802B158
	v_pk_mul_f32 v[6:7], v[90:91], v[90:91]                    // 00000000C5F0: D3B14006 1802B55A
	v_pk_fma_f32 v[4:5], v[4:5], s[78:79], v[8:9]              // 00000000C5F8: D3B04004 1C209D04
	v_pk_fma_f32 v[6:7], v[6:7], s[78:79], v[8:9]              // 00000000C600: D3B04006 1C209D06
	v_pk_mul_f32 v[4:5], v[4:5], v[88:89]                      // 00000000C608: D3B14004 1802B104
	v_pk_mul_f32 v[6:7], v[6:7], v[90:91]                      // 00000000C610: D3B14006 1802B506
	v_pk_mul_f32 v[4:5], v[4:5], s[60:61]                      // 00000000C618: D3B14004 18007904
	v_pk_mul_f32 v[6:7], v[6:7], s[60:61]                      // 00000000C620: D3B14006 18007906
	v_exp_f32_e32 v4, v4                                       // 00000000C628: 7E084104
	v_exp_f32_e32 v5, v5                                       // 00000000C62C: 7E0A4105
	v_exp_f32_e32 v6, v6                                       // 00000000C630: 7E0C4106
	v_exp_f32_e32 v7, v7                                       // 00000000C634: 7E0E4107
	v_add_f32_e64 v4, v4, 1.0                                  // 00000000C638: D1010004 0001E504
	v_add_f32_e64 v5, v5, 1.0                                  // 00000000C640: D1010005 0001E505
	v_add_f32_e64 v6, v6, 1.0                                  // 00000000C648: D1010006 0001E506
	v_add_f32_e64 v7, v7, 1.0                                  // 00000000C650: D1010007 0001E507
	v_rcp_f32_e32 v4, v4                                       // 00000000C658: 7E084504
	v_rcp_f32_e32 v5, v5                                       // 00000000C65C: 7E0A4505
	v_rcp_f32_e32 v6, v6                                       // 00000000C660: 7E0C4506
	v_rcp_f32_e32 v7, v7                                       // 00000000C664: 7E0E4507
	v_mul_f32_e32 v88, v88, v4                                 // 00000000C668: 0AB00958
	v_mul_f32_e32 v89, v89, v5                                 // 00000000C66C: 0AB20B59
	v_mul_f32_e32 v90, v90, v6                                 // 00000000C670: 0AB40D5A
	v_mul_f32_e32 v91, v91, v7                                 // 00000000C674: 0AB60F5B
	v_mul_f32_e32 v88, v88, v144                               // 00000000C678: 0AB12158
	v_mul_f32_e32 v89, v89, v145                               // 00000000C67C: 0AB32359
	v_mul_f32_e32 v90, v90, v146                               // 00000000C680: 0AB5255A
	v_mul_f32_e32 v91, v91, v147                               // 00000000C684: 0AB7275B
	v_pk_mul_f32 v[4:5], v[92:93], v[92:93]                    // 00000000C688: D3B14004 1802B95C
	v_pk_mul_f32 v[6:7], v[94:95], v[94:95]                    // 00000000C690: D3B14006 1802BD5E
	v_pk_fma_f32 v[4:5], v[4:5], s[78:79], v[8:9]              // 00000000C698: D3B04004 1C209D04
	v_pk_fma_f32 v[6:7], v[6:7], s[78:79], v[8:9]              // 00000000C6A0: D3B04006 1C209D06
	v_pk_mul_f32 v[4:5], v[4:5], v[92:93]                      // 00000000C6A8: D3B14004 1802B904
	v_pk_mul_f32 v[6:7], v[6:7], v[94:95]                      // 00000000C6B0: D3B14006 1802BD06
	v_pk_mul_f32 v[4:5], v[4:5], s[60:61]                      // 00000000C6B8: D3B14004 18007904
	v_pk_mul_f32 v[6:7], v[6:7], s[60:61]                      // 00000000C6C0: D3B14006 18007906
	v_exp_f32_e32 v4, v4                                       // 00000000C6C8: 7E084104
	v_exp_f32_e32 v5, v5                                       // 00000000C6CC: 7E0A4105
	v_exp_f32_e32 v6, v6                                       // 00000000C6D0: 7E0C4106
	v_exp_f32_e32 v7, v7                                       // 00000000C6D4: 7E0E4107
	v_add_f32_e64 v4, v4, 1.0                                  // 00000000C6D8: D1010004 0001E504
	v_add_f32_e64 v5, v5, 1.0                                  // 00000000C6E0: D1010005 0001E505
	v_add_f32_e64 v6, v6, 1.0                                  // 00000000C6E8: D1010006 0001E506
	v_add_f32_e64 v7, v7, 1.0                                  // 00000000C6F0: D1010007 0001E507
	v_rcp_f32_e32 v4, v4                                       // 00000000C6F8: 7E084504
	v_rcp_f32_e32 v5, v5                                       // 00000000C6FC: 7E0A4505
	v_rcp_f32_e32 v6, v6                                       // 00000000C700: 7E0C4506
	v_rcp_f32_e32 v7, v7                                       // 00000000C704: 7E0E4507
	v_mul_f32_e32 v92, v92, v4                                 // 00000000C708: 0AB8095C
	v_mul_f32_e32 v93, v93, v5                                 // 00000000C70C: 0ABA0B5D
	v_mul_f32_e32 v94, v94, v6                                 // 00000000C710: 0ABC0D5E
	v_mul_f32_e32 v95, v95, v7                                 // 00000000C714: 0ABE0F5F
	v_mul_f32_e32 v92, v92, v148                               // 00000000C718: 0AB9295C
	v_mul_f32_e32 v93, v93, v149                               // 00000000C71C: 0ABB2B5D
	v_mul_f32_e32 v94, v94, v150                               // 00000000C720: 0ABD2D5E
	v_mul_f32_e32 v95, v95, v151                               // 00000000C724: 0ABF2F5F
	v_pk_mul_f32 v[4:5], v[96:97], v[96:97]                    // 00000000C728: D3B14004 1802C160
	v_pk_mul_f32 v[6:7], v[98:99], v[98:99]                    // 00000000C730: D3B14006 1802C562
	v_pk_fma_f32 v[4:5], v[4:5], s[78:79], v[8:9]              // 00000000C738: D3B04004 1C209D04
	v_pk_fma_f32 v[6:7], v[6:7], s[78:79], v[8:9]              // 00000000C740: D3B04006 1C209D06
	v_pk_mul_f32 v[4:5], v[4:5], v[96:97]                      // 00000000C748: D3B14004 1802C104
	v_pk_mul_f32 v[6:7], v[6:7], v[98:99]                      // 00000000C750: D3B14006 1802C506
	v_pk_mul_f32 v[4:5], v[4:5], s[60:61]                      // 00000000C758: D3B14004 18007904
	v_pk_mul_f32 v[6:7], v[6:7], s[60:61]                      // 00000000C760: D3B14006 18007906
	v_exp_f32_e32 v4, v4                                       // 00000000C768: 7E084104
	v_exp_f32_e32 v5, v5                                       // 00000000C76C: 7E0A4105
	v_exp_f32_e32 v6, v6                                       // 00000000C770: 7E0C4106
	v_exp_f32_e32 v7, v7                                       // 00000000C774: 7E0E4107
	v_add_f32_e64 v4, v4, 1.0                                  // 00000000C778: D1010004 0001E504
	v_add_f32_e64 v5, v5, 1.0                                  // 00000000C780: D1010005 0001E505
	v_add_f32_e64 v6, v6, 1.0                                  // 00000000C788: D1010006 0001E506
	v_add_f32_e64 v7, v7, 1.0                                  // 00000000C790: D1010007 0001E507
	v_rcp_f32_e32 v4, v4                                       // 00000000C798: 7E084504
	v_rcp_f32_e32 v5, v5                                       // 00000000C79C: 7E0A4505
	v_rcp_f32_e32 v6, v6                                       // 00000000C7A0: 7E0C4506
	v_rcp_f32_e32 v7, v7                                       // 00000000C7A4: 7E0E4507
	v_mul_f32_e32 v96, v96, v4                                 // 00000000C7A8: 0AC00960
	v_mul_f32_e32 v97, v97, v5                                 // 00000000C7AC: 0AC20B61
	v_mul_f32_e32 v98, v98, v6                                 // 00000000C7B0: 0AC40D62
	v_mul_f32_e32 v99, v99, v7                                 // 00000000C7B4: 0AC60F63
	v_mul_f32_e32 v96, v96, v152                               // 00000000C7B8: 0AC13160
	v_mul_f32_e32 v97, v97, v153                               // 00000000C7BC: 0AC33361
	v_mul_f32_e32 v98, v98, v154                               // 00000000C7C0: 0AC53562
	v_mul_f32_e32 v99, v99, v155                               // 00000000C7C4: 0AC73763
	v_pk_mul_f32 v[4:5], v[100:101], v[100:101]                // 00000000C7C8: D3B14004 1802C964
	v_pk_mul_f32 v[6:7], v[102:103], v[102:103]                // 00000000C7D0: D3B14006 1802CD66
	v_pk_fma_f32 v[4:5], v[4:5], s[78:79], v[8:9]              // 00000000C7D8: D3B04004 1C209D04
	v_pk_fma_f32 v[6:7], v[6:7], s[78:79], v[8:9]              // 00000000C7E0: D3B04006 1C209D06
	v_pk_mul_f32 v[4:5], v[4:5], v[100:101]                    // 00000000C7E8: D3B14004 1802C904
	v_pk_mul_f32 v[6:7], v[6:7], v[102:103]                    // 00000000C7F0: D3B14006 1802CD06
	v_pk_mul_f32 v[4:5], v[4:5], s[60:61]                      // 00000000C7F8: D3B14004 18007904
	v_pk_mul_f32 v[6:7], v[6:7], s[60:61]                      // 00000000C800: D3B14006 18007906
	v_exp_f32_e32 v4, v4                                       // 00000000C808: 7E084104
	v_exp_f32_e32 v5, v5                                       // 00000000C80C: 7E0A4105
	v_exp_f32_e32 v6, v6                                       // 00000000C810: 7E0C4106
	v_exp_f32_e32 v7, v7                                       // 00000000C814: 7E0E4107
	v_add_f32_e64 v4, v4, 1.0                                  // 00000000C818: D1010004 0001E504
	v_add_f32_e64 v5, v5, 1.0                                  // 00000000C820: D1010005 0001E505
	v_add_f32_e64 v6, v6, 1.0                                  // 00000000C828: D1010006 0001E506
	v_add_f32_e64 v7, v7, 1.0                                  // 00000000C830: D1010007 0001E507
	v_rcp_f32_e32 v4, v4                                       // 00000000C838: 7E084504
	v_rcp_f32_e32 v5, v5                                       // 00000000C83C: 7E0A4505
	v_rcp_f32_e32 v6, v6                                       // 00000000C840: 7E0C4506
	v_rcp_f32_e32 v7, v7                                       // 00000000C844: 7E0E4507
	v_mul_f32_e32 v100, v100, v4                               // 00000000C848: 0AC80964
	v_mul_f32_e32 v101, v101, v5                               // 00000000C84C: 0ACA0B65
	v_mul_f32_e32 v102, v102, v6                               // 00000000C850: 0ACC0D66
	v_mul_f32_e32 v103, v103, v7                               // 00000000C854: 0ACE0F67
	v_mul_f32_e32 v100, v100, v156                             // 00000000C858: 0AC93964
	v_mul_f32_e32 v101, v101, v157                             // 00000000C85C: 0ACB3B65
	v_mul_f32_e32 v102, v102, v158                             // 00000000C860: 0ACD3D66
	v_mul_f32_e32 v103, v103, v159                             // 00000000C864: 0ACF3F67
	v_pk_mul_f32 v[4:5], v[104:105], v[104:105]                // 00000000C868: D3B14004 1802D168
	v_pk_mul_f32 v[6:7], v[106:107], v[106:107]                // 00000000C870: D3B14006 1802D56A
	v_pk_fma_f32 v[4:5], v[4:5], s[78:79], v[8:9]              // 00000000C878: D3B04004 1C209D04
	v_pk_fma_f32 v[6:7], v[6:7], s[78:79], v[8:9]              // 00000000C880: D3B04006 1C209D06
	v_pk_mul_f32 v[4:5], v[4:5], v[104:105]                    // 00000000C888: D3B14004 1802D104
	v_pk_mul_f32 v[6:7], v[6:7], v[106:107]                    // 00000000C890: D3B14006 1802D506
	v_pk_mul_f32 v[4:5], v[4:5], s[60:61]                      // 00000000C898: D3B14004 18007904
	v_pk_mul_f32 v[6:7], v[6:7], s[60:61]                      // 00000000C8A0: D3B14006 18007906
	v_exp_f32_e32 v4, v4                                       // 00000000C8A8: 7E084104
	v_exp_f32_e32 v5, v5                                       // 00000000C8AC: 7E0A4105
	v_exp_f32_e32 v6, v6                                       // 00000000C8B0: 7E0C4106
	v_exp_f32_e32 v7, v7                                       // 00000000C8B4: 7E0E4107
	v_add_f32_e64 v4, v4, 1.0                                  // 00000000C8B8: D1010004 0001E504
	v_add_f32_e64 v5, v5, 1.0                                  // 00000000C8C0: D1010005 0001E505
	v_add_f32_e64 v6, v6, 1.0                                  // 00000000C8C8: D1010006 0001E506
	v_add_f32_e64 v7, v7, 1.0                                  // 00000000C8D0: D1010007 0001E507
	v_rcp_f32_e32 v4, v4                                       // 00000000C8D8: 7E084504
	v_rcp_f32_e32 v5, v5                                       // 00000000C8DC: 7E0A4505
	v_rcp_f32_e32 v6, v6                                       // 00000000C8E0: 7E0C4506
	v_rcp_f32_e32 v7, v7                                       // 00000000C8E4: 7E0E4507
	v_mul_f32_e32 v104, v104, v4                               // 00000000C8E8: 0AD00968
	v_mul_f32_e32 v105, v105, v5                               // 00000000C8EC: 0AD20B69
	v_mul_f32_e32 v106, v106, v6                               // 00000000C8F0: 0AD40D6A
	v_mul_f32_e32 v107, v107, v7                               // 00000000C8F4: 0AD60F6B
	v_mul_f32_e32 v104, v104, v160                             // 00000000C8F8: 0AD14168
	v_mul_f32_e32 v105, v105, v161                             // 00000000C8FC: 0AD34369
	v_mul_f32_e32 v106, v106, v162                             // 00000000C900: 0AD5456A
	v_mul_f32_e32 v107, v107, v163                             // 00000000C904: 0AD7476B
	v_pk_mul_f32 v[4:5], v[108:109], v[108:109]                // 00000000C908: D3B14004 1802D96C
	v_pk_mul_f32 v[6:7], v[110:111], v[110:111]                // 00000000C910: D3B14006 1802DD6E
	v_pk_fma_f32 v[4:5], v[4:5], s[78:79], v[8:9]              // 00000000C918: D3B04004 1C209D04
	v_pk_fma_f32 v[6:7], v[6:7], s[78:79], v[8:9]              // 00000000C920: D3B04006 1C209D06
	v_pk_mul_f32 v[4:5], v[4:5], v[108:109]                    // 00000000C928: D3B14004 1802D904
	v_pk_mul_f32 v[6:7], v[6:7], v[110:111]                    // 00000000C930: D3B14006 1802DD06
	v_pk_mul_f32 v[4:5], v[4:5], s[60:61]                      // 00000000C938: D3B14004 18007904
	v_pk_mul_f32 v[6:7], v[6:7], s[60:61]                      // 00000000C940: D3B14006 18007906
	v_exp_f32_e32 v4, v4                                       // 00000000C948: 7E084104
	v_exp_f32_e32 v5, v5                                       // 00000000C94C: 7E0A4105
	v_exp_f32_e32 v6, v6                                       // 00000000C950: 7E0C4106
	v_exp_f32_e32 v7, v7                                       // 00000000C954: 7E0E4107
	v_add_f32_e64 v4, v4, 1.0                                  // 00000000C958: D1010004 0001E504
	v_add_f32_e64 v5, v5, 1.0                                  // 00000000C960: D1010005 0001E505
	v_add_f32_e64 v6, v6, 1.0                                  // 00000000C968: D1010006 0001E506
	v_add_f32_e64 v7, v7, 1.0                                  // 00000000C970: D1010007 0001E507
	v_rcp_f32_e32 v4, v4                                       // 00000000C978: 7E084504
	v_rcp_f32_e32 v5, v5                                       // 00000000C97C: 7E0A4505
	v_rcp_f32_e32 v6, v6                                       // 00000000C980: 7E0C4506
	v_rcp_f32_e32 v7, v7                                       // 00000000C984: 7E0E4507
	v_mul_f32_e32 v108, v108, v4                               // 00000000C988: 0AD8096C
	v_mul_f32_e32 v109, v109, v5                               // 00000000C98C: 0ADA0B6D
	v_mul_f32_e32 v110, v110, v6                               // 00000000C990: 0ADC0D6E
	v_mul_f32_e32 v111, v111, v7                               // 00000000C994: 0ADE0F6F
	v_mul_f32_e32 v108, v108, v164                             // 00000000C998: 0AD9496C
	v_mul_f32_e32 v109, v109, v165                             // 00000000C99C: 0ADB4B6D
	v_mul_f32_e32 v110, v110, v166                             // 00000000C9A0: 0ADD4D6E
	v_mul_f32_e32 v111, v111, v167                             // 00000000C9A4: 0ADF4F6F
	v_pk_mul_f32 v[4:5], v[112:113], v[112:113]                // 00000000C9A8: D3B14004 1802E170
	v_pk_mul_f32 v[6:7], v[114:115], v[114:115]                // 00000000C9B0: D3B14006 1802E572
	v_pk_fma_f32 v[4:5], v[4:5], s[78:79], v[8:9]              // 00000000C9B8: D3B04004 1C209D04
	v_pk_fma_f32 v[6:7], v[6:7], s[78:79], v[8:9]              // 00000000C9C0: D3B04006 1C209D06
	v_pk_mul_f32 v[4:5], v[4:5], v[112:113]                    // 00000000C9C8: D3B14004 1802E104
	v_pk_mul_f32 v[6:7], v[6:7], v[114:115]                    // 00000000C9D0: D3B14006 1802E506
	v_pk_mul_f32 v[4:5], v[4:5], s[60:61]                      // 00000000C9D8: D3B14004 18007904
	v_pk_mul_f32 v[6:7], v[6:7], s[60:61]                      // 00000000C9E0: D3B14006 18007906
	v_exp_f32_e32 v4, v4                                       // 00000000C9E8: 7E084104
	v_exp_f32_e32 v5, v5                                       // 00000000C9EC: 7E0A4105
	v_exp_f32_e32 v6, v6                                       // 00000000C9F0: 7E0C4106
	v_exp_f32_e32 v7, v7                                       // 00000000C9F4: 7E0E4107
	v_add_f32_e64 v4, v4, 1.0                                  // 00000000C9F8: D1010004 0001E504
	v_add_f32_e64 v5, v5, 1.0                                  // 00000000CA00: D1010005 0001E505
	v_add_f32_e64 v6, v6, 1.0                                  // 00000000CA08: D1010006 0001E506
	v_add_f32_e64 v7, v7, 1.0                                  // 00000000CA10: D1010007 0001E507
	v_rcp_f32_e32 v4, v4                                       // 00000000CA18: 7E084504
	v_rcp_f32_e32 v5, v5                                       // 00000000CA1C: 7E0A4505
	v_rcp_f32_e32 v6, v6                                       // 00000000CA20: 7E0C4506
	v_rcp_f32_e32 v7, v7                                       // 00000000CA24: 7E0E4507
	v_mul_f32_e32 v112, v112, v4                               // 00000000CA28: 0AE00970
	v_mul_f32_e32 v113, v113, v5                               // 00000000CA2C: 0AE20B71
	v_mul_f32_e32 v114, v114, v6                               // 00000000CA30: 0AE40D72
	v_mul_f32_e32 v115, v115, v7                               // 00000000CA34: 0AE60F73
	v_mul_f32_e32 v112, v112, v168                             // 00000000CA38: 0AE15170
	v_mul_f32_e32 v113, v113, v169                             // 00000000CA3C: 0AE35371
	v_mul_f32_e32 v114, v114, v170                             // 00000000CA40: 0AE55572
	v_mul_f32_e32 v115, v115, v171                             // 00000000CA44: 0AE75773
	v_pk_mul_f32 v[4:5], v[116:117], v[116:117]                // 00000000CA48: D3B14004 1802E974
	v_pk_mul_f32 v[6:7], v[118:119], v[118:119]                // 00000000CA50: D3B14006 1802ED76
	v_pk_fma_f32 v[4:5], v[4:5], s[78:79], v[8:9]              // 00000000CA58: D3B04004 1C209D04
	v_pk_fma_f32 v[6:7], v[6:7], s[78:79], v[8:9]              // 00000000CA60: D3B04006 1C209D06
	v_pk_mul_f32 v[4:5], v[4:5], v[116:117]                    // 00000000CA68: D3B14004 1802E904
	v_pk_mul_f32 v[6:7], v[6:7], v[118:119]                    // 00000000CA70: D3B14006 1802ED06
	v_pk_mul_f32 v[4:5], v[4:5], s[60:61]                      // 00000000CA78: D3B14004 18007904
	v_pk_mul_f32 v[6:7], v[6:7], s[60:61]                      // 00000000CA80: D3B14006 18007906
	v_exp_f32_e32 v4, v4                                       // 00000000CA88: 7E084104
	v_exp_f32_e32 v5, v5                                       // 00000000CA8C: 7E0A4105
	v_exp_f32_e32 v6, v6                                       // 00000000CA90: 7E0C4106
	v_exp_f32_e32 v7, v7                                       // 00000000CA94: 7E0E4107
	v_add_f32_e64 v4, v4, 1.0                                  // 00000000CA98: D1010004 0001E504
	v_add_f32_e64 v5, v5, 1.0                                  // 00000000CAA0: D1010005 0001E505
	v_add_f32_e64 v6, v6, 1.0                                  // 00000000CAA8: D1010006 0001E506
	v_add_f32_e64 v7, v7, 1.0                                  // 00000000CAB0: D1010007 0001E507
	v_rcp_f32_e32 v4, v4                                       // 00000000CAB8: 7E084504
	v_rcp_f32_e32 v5, v5                                       // 00000000CABC: 7E0A4505
	v_rcp_f32_e32 v6, v6                                       // 00000000CAC0: 7E0C4506
	v_rcp_f32_e32 v7, v7                                       // 00000000CAC4: 7E0E4507
	v_mul_f32_e32 v116, v116, v4                               // 00000000CAC8: 0AE80974
	v_mul_f32_e32 v117, v117, v5                               // 00000000CACC: 0AEA0B75
	v_mul_f32_e32 v118, v118, v6                               // 00000000CAD0: 0AEC0D76
	v_mul_f32_e32 v119, v119, v7                               // 00000000CAD4: 0AEE0F77
	v_mul_f32_e32 v116, v116, v172                             // 00000000CAD8: 0AE95974
	v_mul_f32_e32 v117, v117, v173                             // 00000000CADC: 0AEB5B75
	v_mul_f32_e32 v118, v118, v174                             // 00000000CAE0: 0AED5D76
	v_mul_f32_e32 v119, v119, v175                             // 00000000CAE4: 0AEF5F77
	v_pk_mul_f32 v[4:5], v[120:121], v[120:121]                // 00000000CAE8: D3B14004 1802F178
	v_pk_mul_f32 v[6:7], v[122:123], v[122:123]                // 00000000CAF0: D3B14006 1802F57A
	v_pk_fma_f32 v[4:5], v[4:5], s[78:79], v[8:9]              // 00000000CAF8: D3B04004 1C209D04
	v_pk_fma_f32 v[6:7], v[6:7], s[78:79], v[8:9]              // 00000000CB00: D3B04006 1C209D06
	v_pk_mul_f32 v[4:5], v[4:5], v[120:121]                    // 00000000CB08: D3B14004 1802F104
	v_pk_mul_f32 v[6:7], v[6:7], v[122:123]                    // 00000000CB10: D3B14006 1802F506
	v_pk_mul_f32 v[4:5], v[4:5], s[60:61]                      // 00000000CB18: D3B14004 18007904
	v_pk_mul_f32 v[6:7], v[6:7], s[60:61]                      // 00000000CB20: D3B14006 18007906
	v_exp_f32_e32 v4, v4                                       // 00000000CB28: 7E084104
	v_exp_f32_e32 v5, v5                                       // 00000000CB2C: 7E0A4105
	v_exp_f32_e32 v6, v6                                       // 00000000CB30: 7E0C4106
	v_exp_f32_e32 v7, v7                                       // 00000000CB34: 7E0E4107
	v_add_f32_e64 v4, v4, 1.0                                  // 00000000CB38: D1010004 0001E504
	v_add_f32_e64 v5, v5, 1.0                                  // 00000000CB40: D1010005 0001E505
	v_add_f32_e64 v6, v6, 1.0                                  // 00000000CB48: D1010006 0001E506
	v_add_f32_e64 v7, v7, 1.0                                  // 00000000CB50: D1010007 0001E507
	v_rcp_f32_e32 v4, v4                                       // 00000000CB58: 7E084504
	v_rcp_f32_e32 v5, v5                                       // 00000000CB5C: 7E0A4505
	v_rcp_f32_e32 v6, v6                                       // 00000000CB60: 7E0C4506
	v_rcp_f32_e32 v7, v7                                       // 00000000CB64: 7E0E4507
	v_mul_f32_e32 v120, v120, v4                               // 00000000CB68: 0AF00978
	v_mul_f32_e32 v121, v121, v5                               // 00000000CB6C: 0AF20B79
	v_mul_f32_e32 v122, v122, v6                               // 00000000CB70: 0AF40D7A
	v_mul_f32_e32 v123, v123, v7                               // 00000000CB74: 0AF60F7B
	v_mul_f32_e32 v120, v120, v176                             // 00000000CB78: 0AF16178
	v_mul_f32_e32 v121, v121, v177                             // 00000000CB7C: 0AF36379
	v_mul_f32_e32 v122, v122, v178                             // 00000000CB80: 0AF5657A
	v_mul_f32_e32 v123, v123, v179                             // 00000000CB84: 0AF7677B
	v_pk_mul_f32 v[4:5], v[124:125], v[124:125]                // 00000000CB88: D3B14004 1802F97C
	v_pk_mul_f32 v[6:7], v[126:127], v[126:127]                // 00000000CB90: D3B14006 1802FD7E
	v_pk_fma_f32 v[4:5], v[4:5], s[78:79], v[8:9]              // 00000000CB98: D3B04004 1C209D04
	v_pk_fma_f32 v[6:7], v[6:7], s[78:79], v[8:9]              // 00000000CBA0: D3B04006 1C209D06
	v_pk_mul_f32 v[4:5], v[4:5], v[124:125]                    // 00000000CBA8: D3B14004 1802F904
	v_pk_mul_f32 v[6:7], v[6:7], v[126:127]                    // 00000000CBB0: D3B14006 1802FD06
	v_pk_mul_f32 v[4:5], v[4:5], s[60:61]                      // 00000000CBB8: D3B14004 18007904
	v_pk_mul_f32 v[6:7], v[6:7], s[60:61]                      // 00000000CBC0: D3B14006 18007906
	v_exp_f32_e32 v4, v4                                       // 00000000CBC8: 7E084104
	v_exp_f32_e32 v5, v5                                       // 00000000CBCC: 7E0A4105
	v_exp_f32_e32 v6, v6                                       // 00000000CBD0: 7E0C4106
	v_exp_f32_e32 v7, v7                                       // 00000000CBD4: 7E0E4107
	v_add_f32_e64 v4, v4, 1.0                                  // 00000000CBD8: D1010004 0001E504
	v_add_f32_e64 v5, v5, 1.0                                  // 00000000CBE0: D1010005 0001E505
	v_add_f32_e64 v6, v6, 1.0                                  // 00000000CBE8: D1010006 0001E506
	v_add_f32_e64 v7, v7, 1.0                                  // 00000000CBF0: D1010007 0001E507
	v_rcp_f32_e32 v4, v4                                       // 00000000CBF8: 7E084504
	v_rcp_f32_e32 v5, v5                                       // 00000000CBFC: 7E0A4505
	v_rcp_f32_e32 v6, v6                                       // 00000000CC00: 7E0C4506
	v_rcp_f32_e32 v7, v7                                       // 00000000CC04: 7E0E4507
	v_mul_f32_e32 v124, v124, v4                               // 00000000CC08: 0AF8097C
	v_mul_f32_e32 v125, v125, v5                               // 00000000CC0C: 0AFA0B7D
	v_mul_f32_e32 v126, v126, v6                               // 00000000CC10: 0AFC0D7E
	v_mul_f32_e32 v127, v127, v7                               // 00000000CC14: 0AFE0F7F
	v_mul_f32_e32 v124, v124, v180                             // 00000000CC18: 0AF9697C
	v_mul_f32_e32 v125, v125, v181                             // 00000000CC1C: 0AFB6B7D
	v_mul_f32_e32 v126, v126, v182                             // 00000000CC20: 0AFD6D7E
	v_mul_f32_e32 v127, v127, v183                             // 00000000CC24: 0AFF6F7F
	v_pk_mul_f32 v[4:5], v[128:129], v[128:129]                // 00000000CC28: D3B14004 18030180
	v_pk_mul_f32 v[6:7], v[130:131], v[130:131]                // 00000000CC30: D3B14006 18030582
	v_pk_fma_f32 v[4:5], v[4:5], s[78:79], v[8:9]              // 00000000CC38: D3B04004 1C209D04
	v_pk_fma_f32 v[6:7], v[6:7], s[78:79], v[8:9]              // 00000000CC40: D3B04006 1C209D06
	v_pk_mul_f32 v[4:5], v[4:5], v[128:129]                    // 00000000CC48: D3B14004 18030104
	v_pk_mul_f32 v[6:7], v[6:7], v[130:131]                    // 00000000CC50: D3B14006 18030506
	v_pk_mul_f32 v[4:5], v[4:5], s[60:61]                      // 00000000CC58: D3B14004 18007904
	v_pk_mul_f32 v[6:7], v[6:7], s[60:61]                      // 00000000CC60: D3B14006 18007906
	v_exp_f32_e32 v4, v4                                       // 00000000CC68: 7E084104
	v_exp_f32_e32 v5, v5                                       // 00000000CC6C: 7E0A4105
	v_exp_f32_e32 v6, v6                                       // 00000000CC70: 7E0C4106
	v_exp_f32_e32 v7, v7                                       // 00000000CC74: 7E0E4107
	v_add_f32_e64 v4, v4, 1.0                                  // 00000000CC78: D1010004 0001E504
	v_add_f32_e64 v5, v5, 1.0                                  // 00000000CC80: D1010005 0001E505
	v_add_f32_e64 v6, v6, 1.0                                  // 00000000CC88: D1010006 0001E506
	v_add_f32_e64 v7, v7, 1.0                                  // 00000000CC90: D1010007 0001E507
	v_rcp_f32_e32 v4, v4                                       // 00000000CC98: 7E084504
	v_rcp_f32_e32 v5, v5                                       // 00000000CC9C: 7E0A4505
	v_rcp_f32_e32 v6, v6                                       // 00000000CCA0: 7E0C4506
	v_rcp_f32_e32 v7, v7                                       // 00000000CCA4: 7E0E4507
	v_mul_f32_e32 v128, v128, v4                               // 00000000CCA8: 0B000980
	v_mul_f32_e32 v129, v129, v5                               // 00000000CCAC: 0B020B81
	v_mul_f32_e32 v130, v130, v6                               // 00000000CCB0: 0B040D82
	v_mul_f32_e32 v131, v131, v7                               // 00000000CCB4: 0B060F83
	v_mul_f32_e32 v128, v128, v184                             // 00000000CCB8: 0B017180
	v_mul_f32_e32 v129, v129, v185                             // 00000000CCBC: 0B037381
	v_mul_f32_e32 v130, v130, v186                             // 00000000CCC0: 0B057582
	v_mul_f32_e32 v131, v131, v187                             // 00000000CCC4: 0B077783
	s_branch label_2A76                                        // 00000000CCC8: BF8201C0

000000000000cccc <label_28B6>:
	v_mul_f32_e64 v4, -v76, s6                                 // 00000000CCCC: D1050004 20000D4C
	v_mul_f32_e64 v5, -v77, s6                                 // 00000000CCD4: D1050005 20000D4D
	v_mul_f32_e64 v6, -v78, s6                                 // 00000000CCDC: D1050006 20000D4E
	v_mul_f32_e64 v7, -v79, s6                                 // 00000000CCE4: D1050007 20000D4F
	v_exp_f32_e32 v4, v4                                       // 00000000CCEC: 7E084104
	v_exp_f32_e32 v5, v5                                       // 00000000CCF0: 7E0A4105
	v_exp_f32_e32 v6, v6                                       // 00000000CCF4: 7E0C4106
	v_exp_f32_e32 v7, v7                                       // 00000000CCF8: 7E0E4107
	v_add_f32_e64 v4, v4, 1.0                                  // 00000000CCFC: D1010004 0001E504
	v_add_f32_e64 v5, v5, 1.0                                  // 00000000CD04: D1010005 0001E505
	v_add_f32_e64 v6, v6, 1.0                                  // 00000000CD0C: D1010006 0001E506
	v_add_f32_e64 v7, v7, 1.0                                  // 00000000CD14: D1010007 0001E507
	v_rcp_f32_e32 v4, v4                                       // 00000000CD1C: 7E084504
	v_rcp_f32_e32 v5, v5                                       // 00000000CD20: 7E0A4505
	v_rcp_f32_e32 v6, v6                                       // 00000000CD24: 7E0C4506
	v_rcp_f32_e32 v7, v7                                       // 00000000CD28: 7E0E4507
	v_mul_f32_e32 v76, v76, v4                                 // 00000000CD2C: 0A98094C
	v_mul_f32_e32 v77, v77, v5                                 // 00000000CD30: 0A9A0B4D
	v_mul_f32_e32 v78, v78, v6                                 // 00000000CD34: 0A9C0D4E
	v_mul_f32_e32 v79, v79, v7                                 // 00000000CD38: 0A9E0F4F
	v_mul_f32_e32 v76, v76, v132                               // 00000000CD3C: 0A99094C
	v_mul_f32_e32 v77, v77, v133                               // 00000000CD40: 0A9B0B4D
	v_mul_f32_e32 v78, v78, v134                               // 00000000CD44: 0A9D0D4E
	v_mul_f32_e32 v79, v79, v135                               // 00000000CD48: 0A9F0F4F
	v_mul_f32_e64 v4, -v80, s6                                 // 00000000CD4C: D1050004 20000D50
	v_mul_f32_e64 v5, -v81, s6                                 // 00000000CD54: D1050005 20000D51
	v_mul_f32_e64 v6, -v82, s6                                 // 00000000CD5C: D1050006 20000D52
	v_mul_f32_e64 v7, -v83, s6                                 // 00000000CD64: D1050007 20000D53
	v_exp_f32_e32 v4, v4                                       // 00000000CD6C: 7E084104
	v_exp_f32_e32 v5, v5                                       // 00000000CD70: 7E0A4105
	v_exp_f32_e32 v6, v6                                       // 00000000CD74: 7E0C4106
	v_exp_f32_e32 v7, v7                                       // 00000000CD78: 7E0E4107
	v_add_f32_e64 v4, v4, 1.0                                  // 00000000CD7C: D1010004 0001E504
	v_add_f32_e64 v5, v5, 1.0                                  // 00000000CD84: D1010005 0001E505
	v_add_f32_e64 v6, v6, 1.0                                  // 00000000CD8C: D1010006 0001E506
	v_add_f32_e64 v7, v7, 1.0                                  // 00000000CD94: D1010007 0001E507
	v_rcp_f32_e32 v4, v4                                       // 00000000CD9C: 7E084504
	v_rcp_f32_e32 v5, v5                                       // 00000000CDA0: 7E0A4505
	v_rcp_f32_e32 v6, v6                                       // 00000000CDA4: 7E0C4506
	v_rcp_f32_e32 v7, v7                                       // 00000000CDA8: 7E0E4507
	v_mul_f32_e32 v80, v80, v4                                 // 00000000CDAC: 0AA00950
	v_mul_f32_e32 v81, v81, v5                                 // 00000000CDB0: 0AA20B51
	v_mul_f32_e32 v82, v82, v6                                 // 00000000CDB4: 0AA40D52
	v_mul_f32_e32 v83, v83, v7                                 // 00000000CDB8: 0AA60F53
	v_mul_f32_e32 v80, v80, v136                               // 00000000CDBC: 0AA11150
	v_mul_f32_e32 v81, v81, v137                               // 00000000CDC0: 0AA31351
	v_mul_f32_e32 v82, v82, v138                               // 00000000CDC4: 0AA51552
	v_mul_f32_e32 v83, v83, v139                               // 00000000CDC8: 0AA71753
	v_mul_f32_e64 v4, -v84, s6                                 // 00000000CDCC: D1050004 20000D54
	v_mul_f32_e64 v5, -v85, s6                                 // 00000000CDD4: D1050005 20000D55
	v_mul_f32_e64 v6, -v86, s6                                 // 00000000CDDC: D1050006 20000D56
	v_mul_f32_e64 v7, -v87, s6                                 // 00000000CDE4: D1050007 20000D57
	v_exp_f32_e32 v4, v4                                       // 00000000CDEC: 7E084104
	v_exp_f32_e32 v5, v5                                       // 00000000CDF0: 7E0A4105
	v_exp_f32_e32 v6, v6                                       // 00000000CDF4: 7E0C4106
	v_exp_f32_e32 v7, v7                                       // 00000000CDF8: 7E0E4107
	v_add_f32_e64 v4, v4, 1.0                                  // 00000000CDFC: D1010004 0001E504
	v_add_f32_e64 v5, v5, 1.0                                  // 00000000CE04: D1010005 0001E505
	v_add_f32_e64 v6, v6, 1.0                                  // 00000000CE0C: D1010006 0001E506
	v_add_f32_e64 v7, v7, 1.0                                  // 00000000CE14: D1010007 0001E507
	v_rcp_f32_e32 v4, v4                                       // 00000000CE1C: 7E084504
	v_rcp_f32_e32 v5, v5                                       // 00000000CE20: 7E0A4505
	v_rcp_f32_e32 v6, v6                                       // 00000000CE24: 7E0C4506
	v_rcp_f32_e32 v7, v7                                       // 00000000CE28: 7E0E4507
	v_mul_f32_e32 v84, v84, v4                                 // 00000000CE2C: 0AA80954
	v_mul_f32_e32 v85, v85, v5                                 // 00000000CE30: 0AAA0B55
	v_mul_f32_e32 v86, v86, v6                                 // 00000000CE34: 0AAC0D56
	v_mul_f32_e32 v87, v87, v7                                 // 00000000CE38: 0AAE0F57
	v_mul_f32_e32 v84, v84, v140                               // 00000000CE3C: 0AA91954
	v_mul_f32_e32 v85, v85, v141                               // 00000000CE40: 0AAB1B55
	v_mul_f32_e32 v86, v86, v142                               // 00000000CE44: 0AAD1D56
	v_mul_f32_e32 v87, v87, v143                               // 00000000CE48: 0AAF1F57
	v_mul_f32_e64 v4, -v88, s6                                 // 00000000CE4C: D1050004 20000D58
	v_mul_f32_e64 v5, -v89, s6                                 // 00000000CE54: D1050005 20000D59
	v_mul_f32_e64 v6, -v90, s6                                 // 00000000CE5C: D1050006 20000D5A
	v_mul_f32_e64 v7, -v91, s6                                 // 00000000CE64: D1050007 20000D5B
	v_exp_f32_e32 v4, v4                                       // 00000000CE6C: 7E084104
	v_exp_f32_e32 v5, v5                                       // 00000000CE70: 7E0A4105
	v_exp_f32_e32 v6, v6                                       // 00000000CE74: 7E0C4106
	v_exp_f32_e32 v7, v7                                       // 00000000CE78: 7E0E4107
	v_add_f32_e64 v4, v4, 1.0                                  // 00000000CE7C: D1010004 0001E504
	v_add_f32_e64 v5, v5, 1.0                                  // 00000000CE84: D1010005 0001E505
	v_add_f32_e64 v6, v6, 1.0                                  // 00000000CE8C: D1010006 0001E506
	v_add_f32_e64 v7, v7, 1.0                                  // 00000000CE94: D1010007 0001E507
	v_rcp_f32_e32 v4, v4                                       // 00000000CE9C: 7E084504
	v_rcp_f32_e32 v5, v5                                       // 00000000CEA0: 7E0A4505
	v_rcp_f32_e32 v6, v6                                       // 00000000CEA4: 7E0C4506
	v_rcp_f32_e32 v7, v7                                       // 00000000CEA8: 7E0E4507
	v_mul_f32_e32 v88, v88, v4                                 // 00000000CEAC: 0AB00958
	v_mul_f32_e32 v89, v89, v5                                 // 00000000CEB0: 0AB20B59
	v_mul_f32_e32 v90, v90, v6                                 // 00000000CEB4: 0AB40D5A
	v_mul_f32_e32 v91, v91, v7                                 // 00000000CEB8: 0AB60F5B
	v_mul_f32_e32 v88, v88, v144                               // 00000000CEBC: 0AB12158
	v_mul_f32_e32 v89, v89, v145                               // 00000000CEC0: 0AB32359
	v_mul_f32_e32 v90, v90, v146                               // 00000000CEC4: 0AB5255A
	v_mul_f32_e32 v91, v91, v147                               // 00000000CEC8: 0AB7275B
	v_mul_f32_e64 v4, -v92, s6                                 // 00000000CECC: D1050004 20000D5C
	v_mul_f32_e64 v5, -v93, s6                                 // 00000000CED4: D1050005 20000D5D
	v_mul_f32_e64 v6, -v94, s6                                 // 00000000CEDC: D1050006 20000D5E
	v_mul_f32_e64 v7, -v95, s6                                 // 00000000CEE4: D1050007 20000D5F
	v_exp_f32_e32 v4, v4                                       // 00000000CEEC: 7E084104
	v_exp_f32_e32 v5, v5                                       // 00000000CEF0: 7E0A4105
	v_exp_f32_e32 v6, v6                                       // 00000000CEF4: 7E0C4106
	v_exp_f32_e32 v7, v7                                       // 00000000CEF8: 7E0E4107
	v_add_f32_e64 v4, v4, 1.0                                  // 00000000CEFC: D1010004 0001E504
	v_add_f32_e64 v5, v5, 1.0                                  // 00000000CF04: D1010005 0001E505
	v_add_f32_e64 v6, v6, 1.0                                  // 00000000CF0C: D1010006 0001E506
	v_add_f32_e64 v7, v7, 1.0                                  // 00000000CF14: D1010007 0001E507
	v_rcp_f32_e32 v4, v4                                       // 00000000CF1C: 7E084504
	v_rcp_f32_e32 v5, v5                                       // 00000000CF20: 7E0A4505
	v_rcp_f32_e32 v6, v6                                       // 00000000CF24: 7E0C4506
	v_rcp_f32_e32 v7, v7                                       // 00000000CF28: 7E0E4507
	v_mul_f32_e32 v92, v92, v4                                 // 00000000CF2C: 0AB8095C
	v_mul_f32_e32 v93, v93, v5                                 // 00000000CF30: 0ABA0B5D
	v_mul_f32_e32 v94, v94, v6                                 // 00000000CF34: 0ABC0D5E
	v_mul_f32_e32 v95, v95, v7                                 // 00000000CF38: 0ABE0F5F
	v_mul_f32_e32 v92, v92, v148                               // 00000000CF3C: 0AB9295C
	v_mul_f32_e32 v93, v93, v149                               // 00000000CF40: 0ABB2B5D
	v_mul_f32_e32 v94, v94, v150                               // 00000000CF44: 0ABD2D5E
	v_mul_f32_e32 v95, v95, v151                               // 00000000CF48: 0ABF2F5F
	v_mul_f32_e64 v4, -v96, s6                                 // 00000000CF4C: D1050004 20000D60
	v_mul_f32_e64 v5, -v97, s6                                 // 00000000CF54: D1050005 20000D61
	v_mul_f32_e64 v6, -v98, s6                                 // 00000000CF5C: D1050006 20000D62
	v_mul_f32_e64 v7, -v99, s6                                 // 00000000CF64: D1050007 20000D63
	v_exp_f32_e32 v4, v4                                       // 00000000CF6C: 7E084104
	v_exp_f32_e32 v5, v5                                       // 00000000CF70: 7E0A4105
	v_exp_f32_e32 v6, v6                                       // 00000000CF74: 7E0C4106
	v_exp_f32_e32 v7, v7                                       // 00000000CF78: 7E0E4107
	v_add_f32_e64 v4, v4, 1.0                                  // 00000000CF7C: D1010004 0001E504
	v_add_f32_e64 v5, v5, 1.0                                  // 00000000CF84: D1010005 0001E505
	v_add_f32_e64 v6, v6, 1.0                                  // 00000000CF8C: D1010006 0001E506
	v_add_f32_e64 v7, v7, 1.0                                  // 00000000CF94: D1010007 0001E507
	v_rcp_f32_e32 v4, v4                                       // 00000000CF9C: 7E084504
	v_rcp_f32_e32 v5, v5                                       // 00000000CFA0: 7E0A4505
	v_rcp_f32_e32 v6, v6                                       // 00000000CFA4: 7E0C4506
	v_rcp_f32_e32 v7, v7                                       // 00000000CFA8: 7E0E4507
	v_mul_f32_e32 v96, v96, v4                                 // 00000000CFAC: 0AC00960
	v_mul_f32_e32 v97, v97, v5                                 // 00000000CFB0: 0AC20B61
	v_mul_f32_e32 v98, v98, v6                                 // 00000000CFB4: 0AC40D62
	v_mul_f32_e32 v99, v99, v7                                 // 00000000CFB8: 0AC60F63
	v_mul_f32_e32 v96, v96, v152                               // 00000000CFBC: 0AC13160
	v_mul_f32_e32 v97, v97, v153                               // 00000000CFC0: 0AC33361
	v_mul_f32_e32 v98, v98, v154                               // 00000000CFC4: 0AC53562
	v_mul_f32_e32 v99, v99, v155                               // 00000000CFC8: 0AC73763
	v_mul_f32_e64 v4, -v100, s6                                // 00000000CFCC: D1050004 20000D64
	v_mul_f32_e64 v5, -v101, s6                                // 00000000CFD4: D1050005 20000D65
	v_mul_f32_e64 v6, -v102, s6                                // 00000000CFDC: D1050006 20000D66
	v_mul_f32_e64 v7, -v103, s6                                // 00000000CFE4: D1050007 20000D67
	v_exp_f32_e32 v4, v4                                       // 00000000CFEC: 7E084104
	v_exp_f32_e32 v5, v5                                       // 00000000CFF0: 7E0A4105
	v_exp_f32_e32 v6, v6                                       // 00000000CFF4: 7E0C4106
	v_exp_f32_e32 v7, v7                                       // 00000000CFF8: 7E0E4107
	v_add_f32_e64 v4, v4, 1.0                                  // 00000000CFFC: D1010004 0001E504
	v_add_f32_e64 v5, v5, 1.0                                  // 00000000D004: D1010005 0001E505
	v_add_f32_e64 v6, v6, 1.0                                  // 00000000D00C: D1010006 0001E506
	v_add_f32_e64 v7, v7, 1.0                                  // 00000000D014: D1010007 0001E507
	v_rcp_f32_e32 v4, v4                                       // 00000000D01C: 7E084504
	v_rcp_f32_e32 v5, v5                                       // 00000000D020: 7E0A4505
	v_rcp_f32_e32 v6, v6                                       // 00000000D024: 7E0C4506
	v_rcp_f32_e32 v7, v7                                       // 00000000D028: 7E0E4507
	v_mul_f32_e32 v100, v100, v4                               // 00000000D02C: 0AC80964
	v_mul_f32_e32 v101, v101, v5                               // 00000000D030: 0ACA0B65
	v_mul_f32_e32 v102, v102, v6                               // 00000000D034: 0ACC0D66
	v_mul_f32_e32 v103, v103, v7                               // 00000000D038: 0ACE0F67
	v_mul_f32_e32 v100, v100, v156                             // 00000000D03C: 0AC93964
	v_mul_f32_e32 v101, v101, v157                             // 00000000D040: 0ACB3B65
	v_mul_f32_e32 v102, v102, v158                             // 00000000D044: 0ACD3D66
	v_mul_f32_e32 v103, v103, v159                             // 00000000D048: 0ACF3F67
	v_mul_f32_e64 v4, -v104, s6                                // 00000000D04C: D1050004 20000D68
	v_mul_f32_e64 v5, -v105, s6                                // 00000000D054: D1050005 20000D69
	v_mul_f32_e64 v6, -v106, s6                                // 00000000D05C: D1050006 20000D6A
	v_mul_f32_e64 v7, -v107, s6                                // 00000000D064: D1050007 20000D6B
	v_exp_f32_e32 v4, v4                                       // 00000000D06C: 7E084104
	v_exp_f32_e32 v5, v5                                       // 00000000D070: 7E0A4105
	v_exp_f32_e32 v6, v6                                       // 00000000D074: 7E0C4106
	v_exp_f32_e32 v7, v7                                       // 00000000D078: 7E0E4107
	v_add_f32_e64 v4, v4, 1.0                                  // 00000000D07C: D1010004 0001E504
	v_add_f32_e64 v5, v5, 1.0                                  // 00000000D084: D1010005 0001E505
	v_add_f32_e64 v6, v6, 1.0                                  // 00000000D08C: D1010006 0001E506
	v_add_f32_e64 v7, v7, 1.0                                  // 00000000D094: D1010007 0001E507
	v_rcp_f32_e32 v4, v4                                       // 00000000D09C: 7E084504
	v_rcp_f32_e32 v5, v5                                       // 00000000D0A0: 7E0A4505
	v_rcp_f32_e32 v6, v6                                       // 00000000D0A4: 7E0C4506
	v_rcp_f32_e32 v7, v7                                       // 00000000D0A8: 7E0E4507
	v_mul_f32_e32 v104, v104, v4                               // 00000000D0AC: 0AD00968
	v_mul_f32_e32 v105, v105, v5                               // 00000000D0B0: 0AD20B69
	v_mul_f32_e32 v106, v106, v6                               // 00000000D0B4: 0AD40D6A
	v_mul_f32_e32 v107, v107, v7                               // 00000000D0B8: 0AD60F6B
	v_mul_f32_e32 v104, v104, v160                             // 00000000D0BC: 0AD14168
	v_mul_f32_e32 v105, v105, v161                             // 00000000D0C0: 0AD34369
	v_mul_f32_e32 v106, v106, v162                             // 00000000D0C4: 0AD5456A
	v_mul_f32_e32 v107, v107, v163                             // 00000000D0C8: 0AD7476B
	v_mul_f32_e64 v4, -v108, s6                                // 00000000D0CC: D1050004 20000D6C
	v_mul_f32_e64 v5, -v109, s6                                // 00000000D0D4: D1050005 20000D6D
	v_mul_f32_e64 v6, -v110, s6                                // 00000000D0DC: D1050006 20000D6E
	v_mul_f32_e64 v7, -v111, s6                                // 00000000D0E4: D1050007 20000D6F
	v_exp_f32_e32 v4, v4                                       // 00000000D0EC: 7E084104
	v_exp_f32_e32 v5, v5                                       // 00000000D0F0: 7E0A4105
	v_exp_f32_e32 v6, v6                                       // 00000000D0F4: 7E0C4106
	v_exp_f32_e32 v7, v7                                       // 00000000D0F8: 7E0E4107
	v_add_f32_e64 v4, v4, 1.0                                  // 00000000D0FC: D1010004 0001E504
	v_add_f32_e64 v5, v5, 1.0                                  // 00000000D104: D1010005 0001E505
	v_add_f32_e64 v6, v6, 1.0                                  // 00000000D10C: D1010006 0001E506
	v_add_f32_e64 v7, v7, 1.0                                  // 00000000D114: D1010007 0001E507
	v_rcp_f32_e32 v4, v4                                       // 00000000D11C: 7E084504
	v_rcp_f32_e32 v5, v5                                       // 00000000D120: 7E0A4505
	v_rcp_f32_e32 v6, v6                                       // 00000000D124: 7E0C4506
	v_rcp_f32_e32 v7, v7                                       // 00000000D128: 7E0E4507
	v_mul_f32_e32 v108, v108, v4                               // 00000000D12C: 0AD8096C
	v_mul_f32_e32 v109, v109, v5                               // 00000000D130: 0ADA0B6D
	v_mul_f32_e32 v110, v110, v6                               // 00000000D134: 0ADC0D6E
	v_mul_f32_e32 v111, v111, v7                               // 00000000D138: 0ADE0F6F
	v_mul_f32_e32 v108, v108, v164                             // 00000000D13C: 0AD9496C
	v_mul_f32_e32 v109, v109, v165                             // 00000000D140: 0ADB4B6D
	v_mul_f32_e32 v110, v110, v166                             // 00000000D144: 0ADD4D6E
	v_mul_f32_e32 v111, v111, v167                             // 00000000D148: 0ADF4F6F
	v_mul_f32_e64 v4, -v112, s6                                // 00000000D14C: D1050004 20000D70
	v_mul_f32_e64 v5, -v113, s6                                // 00000000D154: D1050005 20000D71
	v_mul_f32_e64 v6, -v114, s6                                // 00000000D15C: D1050006 20000D72
	v_mul_f32_e64 v7, -v115, s6                                // 00000000D164: D1050007 20000D73
	v_exp_f32_e32 v4, v4                                       // 00000000D16C: 7E084104
	v_exp_f32_e32 v5, v5                                       // 00000000D170: 7E0A4105
	v_exp_f32_e32 v6, v6                                       // 00000000D174: 7E0C4106
	v_exp_f32_e32 v7, v7                                       // 00000000D178: 7E0E4107
	v_add_f32_e64 v4, v4, 1.0                                  // 00000000D17C: D1010004 0001E504
	v_add_f32_e64 v5, v5, 1.0                                  // 00000000D184: D1010005 0001E505
	v_add_f32_e64 v6, v6, 1.0                                  // 00000000D18C: D1010006 0001E506
	v_add_f32_e64 v7, v7, 1.0                                  // 00000000D194: D1010007 0001E507
	v_rcp_f32_e32 v4, v4                                       // 00000000D19C: 7E084504
	v_rcp_f32_e32 v5, v5                                       // 00000000D1A0: 7E0A4505
	v_rcp_f32_e32 v6, v6                                       // 00000000D1A4: 7E0C4506
	v_rcp_f32_e32 v7, v7                                       // 00000000D1A8: 7E0E4507
	v_mul_f32_e32 v112, v112, v4                               // 00000000D1AC: 0AE00970
	v_mul_f32_e32 v113, v113, v5                               // 00000000D1B0: 0AE20B71
	v_mul_f32_e32 v114, v114, v6                               // 00000000D1B4: 0AE40D72
	v_mul_f32_e32 v115, v115, v7                               // 00000000D1B8: 0AE60F73
	v_mul_f32_e32 v112, v112, v168                             // 00000000D1BC: 0AE15170
	v_mul_f32_e32 v113, v113, v169                             // 00000000D1C0: 0AE35371
	v_mul_f32_e32 v114, v114, v170                             // 00000000D1C4: 0AE55572
	v_mul_f32_e32 v115, v115, v171                             // 00000000D1C8: 0AE75773
	v_mul_f32_e64 v4, -v116, s6                                // 00000000D1CC: D1050004 20000D74
	v_mul_f32_e64 v5, -v117, s6                                // 00000000D1D4: D1050005 20000D75
	v_mul_f32_e64 v6, -v118, s6                                // 00000000D1DC: D1050006 20000D76
	v_mul_f32_e64 v7, -v119, s6                                // 00000000D1E4: D1050007 20000D77
	v_exp_f32_e32 v4, v4                                       // 00000000D1EC: 7E084104
	v_exp_f32_e32 v5, v5                                       // 00000000D1F0: 7E0A4105
	v_exp_f32_e32 v6, v6                                       // 00000000D1F4: 7E0C4106
	v_exp_f32_e32 v7, v7                                       // 00000000D1F8: 7E0E4107
	v_add_f32_e64 v4, v4, 1.0                                  // 00000000D1FC: D1010004 0001E504
	v_add_f32_e64 v5, v5, 1.0                                  // 00000000D204: D1010005 0001E505
	v_add_f32_e64 v6, v6, 1.0                                  // 00000000D20C: D1010006 0001E506
	v_add_f32_e64 v7, v7, 1.0                                  // 00000000D214: D1010007 0001E507
	v_rcp_f32_e32 v4, v4                                       // 00000000D21C: 7E084504
	v_rcp_f32_e32 v5, v5                                       // 00000000D220: 7E0A4505
	v_rcp_f32_e32 v6, v6                                       // 00000000D224: 7E0C4506
	v_rcp_f32_e32 v7, v7                                       // 00000000D228: 7E0E4507
	v_mul_f32_e32 v116, v116, v4                               // 00000000D22C: 0AE80974
	v_mul_f32_e32 v117, v117, v5                               // 00000000D230: 0AEA0B75
	v_mul_f32_e32 v118, v118, v6                               // 00000000D234: 0AEC0D76
	v_mul_f32_e32 v119, v119, v7                               // 00000000D238: 0AEE0F77
	v_mul_f32_e32 v116, v116, v172                             // 00000000D23C: 0AE95974
	v_mul_f32_e32 v117, v117, v173                             // 00000000D240: 0AEB5B75
	v_mul_f32_e32 v118, v118, v174                             // 00000000D244: 0AED5D76
	v_mul_f32_e32 v119, v119, v175                             // 00000000D248: 0AEF5F77
	v_mul_f32_e64 v4, -v120, s6                                // 00000000D24C: D1050004 20000D78
	v_mul_f32_e64 v5, -v121, s6                                // 00000000D254: D1050005 20000D79
	v_mul_f32_e64 v6, -v122, s6                                // 00000000D25C: D1050006 20000D7A
	v_mul_f32_e64 v7, -v123, s6                                // 00000000D264: D1050007 20000D7B
	v_exp_f32_e32 v4, v4                                       // 00000000D26C: 7E084104
	v_exp_f32_e32 v5, v5                                       // 00000000D270: 7E0A4105
	v_exp_f32_e32 v6, v6                                       // 00000000D274: 7E0C4106
	v_exp_f32_e32 v7, v7                                       // 00000000D278: 7E0E4107
	v_add_f32_e64 v4, v4, 1.0                                  // 00000000D27C: D1010004 0001E504
	v_add_f32_e64 v5, v5, 1.0                                  // 00000000D284: D1010005 0001E505
	v_add_f32_e64 v6, v6, 1.0                                  // 00000000D28C: D1010006 0001E506
	v_add_f32_e64 v7, v7, 1.0                                  // 00000000D294: D1010007 0001E507
	v_rcp_f32_e32 v4, v4                                       // 00000000D29C: 7E084504
	v_rcp_f32_e32 v5, v5                                       // 00000000D2A0: 7E0A4505
	v_rcp_f32_e32 v6, v6                                       // 00000000D2A4: 7E0C4506
	v_rcp_f32_e32 v7, v7                                       // 00000000D2A8: 7E0E4507
	v_mul_f32_e32 v120, v120, v4                               // 00000000D2AC: 0AF00978
	v_mul_f32_e32 v121, v121, v5                               // 00000000D2B0: 0AF20B79
	v_mul_f32_e32 v122, v122, v6                               // 00000000D2B4: 0AF40D7A
	v_mul_f32_e32 v123, v123, v7                               // 00000000D2B8: 0AF60F7B
	v_mul_f32_e32 v120, v120, v176                             // 00000000D2BC: 0AF16178
	v_mul_f32_e32 v121, v121, v177                             // 00000000D2C0: 0AF36379
	v_mul_f32_e32 v122, v122, v178                             // 00000000D2C4: 0AF5657A
	v_mul_f32_e32 v123, v123, v179                             // 00000000D2C8: 0AF7677B
	v_mul_f32_e64 v4, -v124, s6                                // 00000000D2CC: D1050004 20000D7C
	v_mul_f32_e64 v5, -v125, s6                                // 00000000D2D4: D1050005 20000D7D
	v_mul_f32_e64 v6, -v126, s6                                // 00000000D2DC: D1050006 20000D7E
	v_mul_f32_e64 v7, -v127, s6                                // 00000000D2E4: D1050007 20000D7F
	v_exp_f32_e32 v4, v4                                       // 00000000D2EC: 7E084104
	v_exp_f32_e32 v5, v5                                       // 00000000D2F0: 7E0A4105
	v_exp_f32_e32 v6, v6                                       // 00000000D2F4: 7E0C4106
	v_exp_f32_e32 v7, v7                                       // 00000000D2F8: 7E0E4107
	v_add_f32_e64 v4, v4, 1.0                                  // 00000000D2FC: D1010004 0001E504
	v_add_f32_e64 v5, v5, 1.0                                  // 00000000D304: D1010005 0001E505
	v_add_f32_e64 v6, v6, 1.0                                  // 00000000D30C: D1010006 0001E506
	v_add_f32_e64 v7, v7, 1.0                                  // 00000000D314: D1010007 0001E507
	v_rcp_f32_e32 v4, v4                                       // 00000000D31C: 7E084504
	v_rcp_f32_e32 v5, v5                                       // 00000000D320: 7E0A4505
	v_rcp_f32_e32 v6, v6                                       // 00000000D324: 7E0C4506
	v_rcp_f32_e32 v7, v7                                       // 00000000D328: 7E0E4507
	v_mul_f32_e32 v124, v124, v4                               // 00000000D32C: 0AF8097C
	v_mul_f32_e32 v125, v125, v5                               // 00000000D330: 0AFA0B7D
	v_mul_f32_e32 v126, v126, v6                               // 00000000D334: 0AFC0D7E
	v_mul_f32_e32 v127, v127, v7                               // 00000000D338: 0AFE0F7F
	v_mul_f32_e32 v124, v124, v180                             // 00000000D33C: 0AF9697C
	v_mul_f32_e32 v125, v125, v181                             // 00000000D340: 0AFB6B7D
	v_mul_f32_e32 v126, v126, v182                             // 00000000D344: 0AFD6D7E
	v_mul_f32_e32 v127, v127, v183                             // 00000000D348: 0AFF6F7F
	v_mul_f32_e64 v4, -v128, s6                                // 00000000D34C: D1050004 20000D80
	v_mul_f32_e64 v5, -v129, s6                                // 00000000D354: D1050005 20000D81
	v_mul_f32_e64 v6, -v130, s6                                // 00000000D35C: D1050006 20000D82
	v_mul_f32_e64 v7, -v131, s6                                // 00000000D364: D1050007 20000D83
	v_exp_f32_e32 v4, v4                                       // 00000000D36C: 7E084104
	v_exp_f32_e32 v5, v5                                       // 00000000D370: 7E0A4105
	v_exp_f32_e32 v6, v6                                       // 00000000D374: 7E0C4106
	v_exp_f32_e32 v7, v7                                       // 00000000D378: 7E0E4107
	v_add_f32_e64 v4, v4, 1.0                                  // 00000000D37C: D1010004 0001E504
	v_add_f32_e64 v5, v5, 1.0                                  // 00000000D384: D1010005 0001E505
	v_add_f32_e64 v6, v6, 1.0                                  // 00000000D38C: D1010006 0001E506
	v_add_f32_e64 v7, v7, 1.0                                  // 00000000D394: D1010007 0001E507
	v_rcp_f32_e32 v4, v4                                       // 00000000D39C: 7E084504
	v_rcp_f32_e32 v5, v5                                       // 00000000D3A0: 7E0A4505
	v_rcp_f32_e32 v6, v6                                       // 00000000D3A4: 7E0C4506
	v_rcp_f32_e32 v7, v7                                       // 00000000D3A8: 7E0E4507
	v_mul_f32_e32 v128, v128, v4                               // 00000000D3AC: 0B000980
	v_mul_f32_e32 v129, v129, v5                               // 00000000D3B0: 0B020B81
	v_mul_f32_e32 v130, v130, v6                               // 00000000D3B4: 0B040D82
	v_mul_f32_e32 v131, v131, v7                               // 00000000D3B8: 0B060F83
	v_mul_f32_e32 v128, v128, v184                             // 00000000D3BC: 0B017180
	v_mul_f32_e32 v129, v129, v185                             // 00000000D3C0: 0B037381
	v_mul_f32_e32 v130, v130, v186                             // 00000000D3C4: 0B057582
	v_mul_f32_e32 v131, v131, v187                             // 00000000D3C8: 0B077783

000000000000d3cc <label_2A76>:
	v_cmp_u_f32_e64 s[46:47], v76, v76                         // 00000000D3CC: D048002E 0002994C
	v_add3_u32 v16, v76, v19, 1                                // 00000000D3D4: D1FF0010 0206274C
	v_cndmask_b32_e64 v4, v16, v18, s[46:47]                   // 00000000D3DC: D1000004 00BA2510
	v_cmp_u_f32_e64 s[46:47], v77, v77                         // 00000000D3E4: D048002E 00029B4D
	v_add3_u32 v16, v77, v19, 1                                // 00000000D3EC: D1FF0010 0206274D
	v_cndmask_b32_e64 v5, v16, v18, s[46:47]                   // 00000000D3F4: D1000005 00BA2510
	v_perm_b32 v76, v5, v4, s52                                // 00000000D3FC: D1ED004C 00D20905
	v_cmp_u_f32_e64 s[46:47], v78, v78                         // 00000000D404: D048002E 00029D4E
	v_add3_u32 v16, v78, v19, 1                                // 00000000D40C: D1FF0010 0206274E
	v_cndmask_b32_e64 v4, v16, v18, s[46:47]                   // 00000000D414: D1000004 00BA2510
	v_cmp_u_f32_e64 s[46:47], v79, v79                         // 00000000D41C: D048002E 00029F4F
	v_add3_u32 v16, v79, v19, 1                                // 00000000D424: D1FF0010 0206274F
	v_cndmask_b32_e64 v5, v16, v18, s[46:47]                   // 00000000D42C: D1000005 00BA2510
	v_perm_b32 v77, v5, v4, s52                                // 00000000D434: D1ED004D 00D20905
	v_cmp_u_f32_e64 s[46:47], v80, v80                         // 00000000D43C: D048002E 0002A150
	v_add3_u32 v16, v80, v19, 1                                // 00000000D444: D1FF0010 02062750
	v_cndmask_b32_e64 v4, v16, v18, s[46:47]                   // 00000000D44C: D1000004 00BA2510
	v_cmp_u_f32_e64 s[46:47], v81, v81                         // 00000000D454: D048002E 0002A351
	v_add3_u32 v16, v81, v19, 1                                // 00000000D45C: D1FF0010 02062751
	v_cndmask_b32_e64 v5, v16, v18, s[46:47]                   // 00000000D464: D1000005 00BA2510
	v_perm_b32 v78, v5, v4, s52                                // 00000000D46C: D1ED004E 00D20905
	v_cmp_u_f32_e64 s[46:47], v82, v82                         // 00000000D474: D048002E 0002A552
	v_add3_u32 v16, v82, v19, 1                                // 00000000D47C: D1FF0010 02062752
	v_cndmask_b32_e64 v4, v16, v18, s[46:47]                   // 00000000D484: D1000004 00BA2510
	v_cmp_u_f32_e64 s[46:47], v83, v83                         // 00000000D48C: D048002E 0002A753
	v_add3_u32 v16, v83, v19, 1                                // 00000000D494: D1FF0010 02062753
	v_cndmask_b32_e64 v5, v16, v18, s[46:47]                   // 00000000D49C: D1000005 00BA2510
	v_perm_b32 v79, v5, v4, s52                                // 00000000D4A4: D1ED004F 00D20905
	v_cmp_u_f32_e64 s[46:47], v84, v84                         // 00000000D4AC: D048002E 0002A954
	v_add3_u32 v16, v84, v19, 1                                // 00000000D4B4: D1FF0010 02062754
	v_cndmask_b32_e64 v4, v16, v18, s[46:47]                   // 00000000D4BC: D1000004 00BA2510
	v_cmp_u_f32_e64 s[46:47], v85, v85                         // 00000000D4C4: D048002E 0002AB55
	v_add3_u32 v16, v85, v19, 1                                // 00000000D4CC: D1FF0010 02062755
	v_cndmask_b32_e64 v5, v16, v18, s[46:47]                   // 00000000D4D4: D1000005 00BA2510
	v_perm_b32 v80, v5, v4, s52                                // 00000000D4DC: D1ED0050 00D20905
	v_cmp_u_f32_e64 s[46:47], v86, v86                         // 00000000D4E4: D048002E 0002AD56
	v_add3_u32 v16, v86, v19, 1                                // 00000000D4EC: D1FF0010 02062756
	v_cndmask_b32_e64 v4, v16, v18, s[46:47]                   // 00000000D4F4: D1000004 00BA2510
	v_cmp_u_f32_e64 s[46:47], v87, v87                         // 00000000D4FC: D048002E 0002AF57
	v_add3_u32 v16, v87, v19, 1                                // 00000000D504: D1FF0010 02062757
	v_cndmask_b32_e64 v5, v16, v18, s[46:47]                   // 00000000D50C: D1000005 00BA2510
	v_perm_b32 v81, v5, v4, s52                                // 00000000D514: D1ED0051 00D20905
	v_cmp_u_f32_e64 s[46:47], v88, v88                         // 00000000D51C: D048002E 0002B158
	v_add3_u32 v16, v88, v19, 1                                // 00000000D524: D1FF0010 02062758
	v_cndmask_b32_e64 v4, v16, v18, s[46:47]                   // 00000000D52C: D1000004 00BA2510
	v_cmp_u_f32_e64 s[46:47], v89, v89                         // 00000000D534: D048002E 0002B359
	v_add3_u32 v16, v89, v19, 1                                // 00000000D53C: D1FF0010 02062759
	v_cndmask_b32_e64 v5, v16, v18, s[46:47]                   // 00000000D544: D1000005 00BA2510
	v_perm_b32 v82, v5, v4, s52                                // 00000000D54C: D1ED0052 00D20905
	v_cmp_u_f32_e64 s[46:47], v90, v90                         // 00000000D554: D048002E 0002B55A
	v_add3_u32 v16, v90, v19, 1                                // 00000000D55C: D1FF0010 0206275A
	v_cndmask_b32_e64 v4, v16, v18, s[46:47]                   // 00000000D564: D1000004 00BA2510
	v_cmp_u_f32_e64 s[46:47], v91, v91                         // 00000000D56C: D048002E 0002B75B
	v_add3_u32 v16, v91, v19, 1                                // 00000000D574: D1FF0010 0206275B
	v_cndmask_b32_e64 v5, v16, v18, s[46:47]                   // 00000000D57C: D1000005 00BA2510
	v_perm_b32 v83, v5, v4, s52                                // 00000000D584: D1ED0053 00D20905
	v_cmp_u_f32_e64 s[46:47], v92, v92                         // 00000000D58C: D048002E 0002B95C
	v_add3_u32 v16, v92, v19, 1                                // 00000000D594: D1FF0010 0206275C
	v_cndmask_b32_e64 v4, v16, v18, s[46:47]                   // 00000000D59C: D1000004 00BA2510
	v_cmp_u_f32_e64 s[46:47], v93, v93                         // 00000000D5A4: D048002E 0002BB5D
	v_add3_u32 v16, v93, v19, 1                                // 00000000D5AC: D1FF0010 0206275D
	v_cndmask_b32_e64 v5, v16, v18, s[46:47]                   // 00000000D5B4: D1000005 00BA2510
	v_perm_b32 v84, v5, v4, s52                                // 00000000D5BC: D1ED0054 00D20905
	v_cmp_u_f32_e64 s[46:47], v94, v94                         // 00000000D5C4: D048002E 0002BD5E
	v_add3_u32 v16, v94, v19, 1                                // 00000000D5CC: D1FF0010 0206275E
	v_cndmask_b32_e64 v4, v16, v18, s[46:47]                   // 00000000D5D4: D1000004 00BA2510
	v_cmp_u_f32_e64 s[46:47], v95, v95                         // 00000000D5DC: D048002E 0002BF5F
	v_add3_u32 v16, v95, v19, 1                                // 00000000D5E4: D1FF0010 0206275F
	v_cndmask_b32_e64 v5, v16, v18, s[46:47]                   // 00000000D5EC: D1000005 00BA2510
	v_perm_b32 v85, v5, v4, s52                                // 00000000D5F4: D1ED0055 00D20905
	v_cmp_u_f32_e64 s[46:47], v96, v96                         // 00000000D5FC: D048002E 0002C160
	v_add3_u32 v16, v96, v19, 1                                // 00000000D604: D1FF0010 02062760
	v_cndmask_b32_e64 v4, v16, v18, s[46:47]                   // 00000000D60C: D1000004 00BA2510
	v_cmp_u_f32_e64 s[46:47], v97, v97                         // 00000000D614: D048002E 0002C361
	v_add3_u32 v16, v97, v19, 1                                // 00000000D61C: D1FF0010 02062761
	v_cndmask_b32_e64 v5, v16, v18, s[46:47]                   // 00000000D624: D1000005 00BA2510
	v_perm_b32 v86, v5, v4, s52                                // 00000000D62C: D1ED0056 00D20905
	v_cmp_u_f32_e64 s[46:47], v98, v98                         // 00000000D634: D048002E 0002C562
	v_add3_u32 v16, v98, v19, 1                                // 00000000D63C: D1FF0010 02062762
	v_cndmask_b32_e64 v4, v16, v18, s[46:47]                   // 00000000D644: D1000004 00BA2510
	v_cmp_u_f32_e64 s[46:47], v99, v99                         // 00000000D64C: D048002E 0002C763
	v_add3_u32 v16, v99, v19, 1                                // 00000000D654: D1FF0010 02062763
	v_cndmask_b32_e64 v5, v16, v18, s[46:47]                   // 00000000D65C: D1000005 00BA2510
	v_perm_b32 v87, v5, v4, s52                                // 00000000D664: D1ED0057 00D20905
	v_cmp_u_f32_e64 s[46:47], v100, v100                       // 00000000D66C: D048002E 0002C964
	v_add3_u32 v16, v100, v19, 1                               // 00000000D674: D1FF0010 02062764
	v_cndmask_b32_e64 v4, v16, v18, s[46:47]                   // 00000000D67C: D1000004 00BA2510
	v_cmp_u_f32_e64 s[46:47], v101, v101                       // 00000000D684: D048002E 0002CB65
	v_add3_u32 v16, v101, v19, 1                               // 00000000D68C: D1FF0010 02062765
	v_cndmask_b32_e64 v5, v16, v18, s[46:47]                   // 00000000D694: D1000005 00BA2510
	v_perm_b32 v88, v5, v4, s52                                // 00000000D69C: D1ED0058 00D20905
	v_cmp_u_f32_e64 s[46:47], v102, v102                       // 00000000D6A4: D048002E 0002CD66
	v_add3_u32 v16, v102, v19, 1                               // 00000000D6AC: D1FF0010 02062766
	v_cndmask_b32_e64 v4, v16, v18, s[46:47]                   // 00000000D6B4: D1000004 00BA2510
	v_cmp_u_f32_e64 s[46:47], v103, v103                       // 00000000D6BC: D048002E 0002CF67
	v_add3_u32 v16, v103, v19, 1                               // 00000000D6C4: D1FF0010 02062767
	v_cndmask_b32_e64 v5, v16, v18, s[46:47]                   // 00000000D6CC: D1000005 00BA2510
	v_perm_b32 v89, v5, v4, s52                                // 00000000D6D4: D1ED0059 00D20905
	v_cmp_u_f32_e64 s[46:47], v104, v104                       // 00000000D6DC: D048002E 0002D168
	v_add3_u32 v16, v104, v19, 1                               // 00000000D6E4: D1FF0010 02062768
	v_cndmask_b32_e64 v4, v16, v18, s[46:47]                   // 00000000D6EC: D1000004 00BA2510
	v_cmp_u_f32_e64 s[46:47], v105, v105                       // 00000000D6F4: D048002E 0002D369
	v_add3_u32 v16, v105, v19, 1                               // 00000000D6FC: D1FF0010 02062769
	v_cndmask_b32_e64 v5, v16, v18, s[46:47]                   // 00000000D704: D1000005 00BA2510
	v_perm_b32 v90, v5, v4, s52                                // 00000000D70C: D1ED005A 00D20905
	v_cmp_u_f32_e64 s[46:47], v106, v106                       // 00000000D714: D048002E 0002D56A
	v_add3_u32 v16, v106, v19, 1                               // 00000000D71C: D1FF0010 0206276A
	v_cndmask_b32_e64 v4, v16, v18, s[46:47]                   // 00000000D724: D1000004 00BA2510
	v_cmp_u_f32_e64 s[46:47], v107, v107                       // 00000000D72C: D048002E 0002D76B
	v_add3_u32 v16, v107, v19, 1                               // 00000000D734: D1FF0010 0206276B
	v_cndmask_b32_e64 v5, v16, v18, s[46:47]                   // 00000000D73C: D1000005 00BA2510
	v_perm_b32 v91, v5, v4, s52                                // 00000000D744: D1ED005B 00D20905
	v_cmp_u_f32_e64 s[46:47], v108, v108                       // 00000000D74C: D048002E 0002D96C
	v_add3_u32 v16, v108, v19, 1                               // 00000000D754: D1FF0010 0206276C
	v_cndmask_b32_e64 v4, v16, v18, s[46:47]                   // 00000000D75C: D1000004 00BA2510
	v_cmp_u_f32_e64 s[46:47], v109, v109                       // 00000000D764: D048002E 0002DB6D
	v_add3_u32 v16, v109, v19, 1                               // 00000000D76C: D1FF0010 0206276D
	v_cndmask_b32_e64 v5, v16, v18, s[46:47]                   // 00000000D774: D1000005 00BA2510
	v_perm_b32 v92, v5, v4, s52                                // 00000000D77C: D1ED005C 00D20905
	v_cmp_u_f32_e64 s[46:47], v110, v110                       // 00000000D784: D048002E 0002DD6E
	v_add3_u32 v16, v110, v19, 1                               // 00000000D78C: D1FF0010 0206276E
	v_cndmask_b32_e64 v4, v16, v18, s[46:47]                   // 00000000D794: D1000004 00BA2510
	v_cmp_u_f32_e64 s[46:47], v111, v111                       // 00000000D79C: D048002E 0002DF6F
	v_add3_u32 v16, v111, v19, 1                               // 00000000D7A4: D1FF0010 0206276F
	v_cndmask_b32_e64 v5, v16, v18, s[46:47]                   // 00000000D7AC: D1000005 00BA2510
	v_perm_b32 v93, v5, v4, s52                                // 00000000D7B4: D1ED005D 00D20905
	v_cmp_u_f32_e64 s[46:47], v112, v112                       // 00000000D7BC: D048002E 0002E170
	v_add3_u32 v16, v112, v19, 1                               // 00000000D7C4: D1FF0010 02062770
	v_cndmask_b32_e64 v4, v16, v18, s[46:47]                   // 00000000D7CC: D1000004 00BA2510
	v_cmp_u_f32_e64 s[46:47], v113, v113                       // 00000000D7D4: D048002E 0002E371
	v_add3_u32 v16, v113, v19, 1                               // 00000000D7DC: D1FF0010 02062771
	v_cndmask_b32_e64 v5, v16, v18, s[46:47]                   // 00000000D7E4: D1000005 00BA2510
	v_perm_b32 v94, v5, v4, s52                                // 00000000D7EC: D1ED005E 00D20905
	v_cmp_u_f32_e64 s[46:47], v114, v114                       // 00000000D7F4: D048002E 0002E572
	v_add3_u32 v16, v114, v19, 1                               // 00000000D7FC: D1FF0010 02062772
	v_cndmask_b32_e64 v4, v16, v18, s[46:47]                   // 00000000D804: D1000004 00BA2510
	v_cmp_u_f32_e64 s[46:47], v115, v115                       // 00000000D80C: D048002E 0002E773
	v_add3_u32 v16, v115, v19, 1                               // 00000000D814: D1FF0010 02062773
	v_cndmask_b32_e64 v5, v16, v18, s[46:47]                   // 00000000D81C: D1000005 00BA2510
	v_perm_b32 v95, v5, v4, s52                                // 00000000D824: D1ED005F 00D20905
	v_cmp_u_f32_e64 s[46:47], v116, v116                       // 00000000D82C: D048002E 0002E974
	v_add3_u32 v16, v116, v19, 1                               // 00000000D834: D1FF0010 02062774
	v_cndmask_b32_e64 v4, v16, v18, s[46:47]                   // 00000000D83C: D1000004 00BA2510
	v_cmp_u_f32_e64 s[46:47], v117, v117                       // 00000000D844: D048002E 0002EB75
	v_add3_u32 v16, v117, v19, 1                               // 00000000D84C: D1FF0010 02062775
	v_cndmask_b32_e64 v5, v16, v18, s[46:47]                   // 00000000D854: D1000005 00BA2510
	v_perm_b32 v96, v5, v4, s52                                // 00000000D85C: D1ED0060 00D20905
	v_cmp_u_f32_e64 s[46:47], v118, v118                       // 00000000D864: D048002E 0002ED76
	v_add3_u32 v16, v118, v19, 1                               // 00000000D86C: D1FF0010 02062776
	v_cndmask_b32_e64 v4, v16, v18, s[46:47]                   // 00000000D874: D1000004 00BA2510
	v_cmp_u_f32_e64 s[46:47], v119, v119                       // 00000000D87C: D048002E 0002EF77
	v_add3_u32 v16, v119, v19, 1                               // 00000000D884: D1FF0010 02062777
	v_cndmask_b32_e64 v5, v16, v18, s[46:47]                   // 00000000D88C: D1000005 00BA2510
	v_perm_b32 v97, v5, v4, s52                                // 00000000D894: D1ED0061 00D20905
	v_cmp_u_f32_e64 s[46:47], v120, v120                       // 00000000D89C: D048002E 0002F178
	v_add3_u32 v16, v120, v19, 1                               // 00000000D8A4: D1FF0010 02062778
	v_cndmask_b32_e64 v4, v16, v18, s[46:47]                   // 00000000D8AC: D1000004 00BA2510
	v_cmp_u_f32_e64 s[46:47], v121, v121                       // 00000000D8B4: D048002E 0002F379
	v_add3_u32 v16, v121, v19, 1                               // 00000000D8BC: D1FF0010 02062779
	v_cndmask_b32_e64 v5, v16, v18, s[46:47]                   // 00000000D8C4: D1000005 00BA2510
	v_perm_b32 v98, v5, v4, s52                                // 00000000D8CC: D1ED0062 00D20905
	v_cmp_u_f32_e64 s[46:47], v122, v122                       // 00000000D8D4: D048002E 0002F57A
	v_add3_u32 v16, v122, v19, 1                               // 00000000D8DC: D1FF0010 0206277A
	v_cndmask_b32_e64 v4, v16, v18, s[46:47]                   // 00000000D8E4: D1000004 00BA2510
	v_cmp_u_f32_e64 s[46:47], v123, v123                       // 00000000D8EC: D048002E 0002F77B
	v_add3_u32 v16, v123, v19, 1                               // 00000000D8F4: D1FF0010 0206277B
	v_cndmask_b32_e64 v5, v16, v18, s[46:47]                   // 00000000D8FC: D1000005 00BA2510
	v_perm_b32 v99, v5, v4, s52                                // 00000000D904: D1ED0063 00D20905
	v_cmp_u_f32_e64 s[46:47], v124, v124                       // 00000000D90C: D048002E 0002F97C
	v_add3_u32 v16, v124, v19, 1                               // 00000000D914: D1FF0010 0206277C
	v_cndmask_b32_e64 v4, v16, v18, s[46:47]                   // 00000000D91C: D1000004 00BA2510
	v_cmp_u_f32_e64 s[46:47], v125, v125                       // 00000000D924: D048002E 0002FB7D
	v_add3_u32 v16, v125, v19, 1                               // 00000000D92C: D1FF0010 0206277D
	v_cndmask_b32_e64 v5, v16, v18, s[46:47]                   // 00000000D934: D1000005 00BA2510
	v_perm_b32 v100, v5, v4, s52                               // 00000000D93C: D1ED0064 00D20905
	v_cmp_u_f32_e64 s[46:47], v126, v126                       // 00000000D944: D048002E 0002FD7E
	v_add3_u32 v16, v126, v19, 1                               // 00000000D94C: D1FF0010 0206277E
	v_cndmask_b32_e64 v4, v16, v18, s[46:47]                   // 00000000D954: D1000004 00BA2510
	v_cmp_u_f32_e64 s[46:47], v127, v127                       // 00000000D95C: D048002E 0002FF7F
	v_add3_u32 v16, v127, v19, 1                               // 00000000D964: D1FF0010 0206277F
	v_cndmask_b32_e64 v5, v16, v18, s[46:47]                   // 00000000D96C: D1000005 00BA2510
	v_perm_b32 v101, v5, v4, s52                               // 00000000D974: D1ED0065 00D20905
	v_cmp_u_f32_e64 s[46:47], v128, v128                       // 00000000D97C: D048002E 00030180
	v_add3_u32 v16, v128, v19, 1                               // 00000000D984: D1FF0010 02062780
	v_cndmask_b32_e64 v4, v16, v18, s[46:47]                   // 00000000D98C: D1000004 00BA2510
	v_cmp_u_f32_e64 s[46:47], v129, v129                       // 00000000D994: D048002E 00030381
	v_add3_u32 v16, v129, v19, 1                               // 00000000D99C: D1FF0010 02062781
	v_cndmask_b32_e64 v5, v16, v18, s[46:47]                   // 00000000D9A4: D1000005 00BA2510
	v_perm_b32 v102, v5, v4, s52                               // 00000000D9AC: D1ED0066 00D20905
	v_cmp_u_f32_e64 s[46:47], v130, v130                       // 00000000D9B4: D048002E 00030582
	v_add3_u32 v16, v130, v19, 1                               // 00000000D9BC: D1FF0010 02062782
	v_cndmask_b32_e64 v4, v16, v18, s[46:47]                   // 00000000D9C4: D1000004 00BA2510
	v_cmp_u_f32_e64 s[46:47], v131, v131                       // 00000000D9CC: D048002E 00030783
	v_add3_u32 v16, v131, v19, 1                               // 00000000D9D4: D1FF0010 02062783
	v_cndmask_b32_e64 v5, v16, v18, s[46:47]                   // 00000000D9DC: D1000005 00BA2510
	v_perm_b32 v103, v5, v4, s52                               // 00000000D9E4: D1ED0067 00D20905
	ds_write_b64 v20, v[76:77]                                 // 00000000D9EC: D89A0000 00004C14
	ds_write_b64 v20, v[78:79] offset:4352                     // 00000000D9F4: D89A1100 00004E14
	ds_write_b64 v20, v[80:81] offset:8704                     // 00000000D9FC: D89A2200 00005014
	ds_write_b64 v20, v[82:83] offset:13056                    // 00000000DA04: D89A3300 00005214
	ds_write_b64 v20, v[84:85] offset:17408                    // 00000000DA0C: D89A4400 00005414
	ds_write_b64 v20, v[86:87] offset:21760                    // 00000000DA14: D89A5500 00005614
	ds_write_b64 v20, v[88:89] offset:26112                    // 00000000DA1C: D89A6600 00005814
	ds_write_b64 v20, v[90:91] offset:2176                     // 00000000DA24: D89A0880 00005A14
	ds_write_b64 v20, v[92:93] offset:6528                     // 00000000DA2C: D89A1980 00005C14
	ds_write_b64 v20, v[94:95] offset:10880                    // 00000000DA34: D89A2A80 00005E14
	ds_write_b64 v20, v[96:97] offset:15232                    // 00000000DA3C: D89A3B80 00006014
	ds_write_b64 v20, v[98:99] offset:19584                    // 00000000DA44: D89A4C80 00006214
	ds_write_b64 v20, v[100:101] offset:23936                  // 00000000DA4C: D89A5D80 00006414
	ds_write_b64 v20, v[102:103] offset:28288                  // 00000000DA54: D89A6E80 00006614
	v_lshrrev_b32_e32 v4, 5, v0                                // 00000000DA5C: 20080085
	v_xor_b32_e32 v5, 1, v4                                    // 00000000DA60: 2A0A0881
	s_mul_i32 s60, s65, 2                                      // 00000000DA64: 923C8241
	s_cmp_eq_u32 s88, 0                                        // 00000000DA68: BF068058
	s_cselect_b32 s61, 1, 4                                    // 00000000DA6C: 853D8481
	s_mul_i32 s60, s61, s60                                    // 00000000DA70: 923C3C3D
	v_readlane_b32 s82, v3, 0                                  // 00000000DA74: D2890052 00010103
	s_lshr_b32 s61, s82, 24                                    // 00000000DA7C: 8F3D9852
	s_and_b32 s82, s82, 0xffffff                               // 00000000DA80: 8652FF52 00FFFFFF
	s_mul_i32 s82, s82, s71                                    // 00000000DA88: 92524752
	s_mul_i32 s61, s60, s61                                    // 00000000DA8C: 923D3D3C
	s_add_u32 s82, s82, s61                                    // 00000000DA90: 80523D52
	v_mul_lo_u32 v6, v5, s82                                   // 00000000DA94: D2850006 0000A505
	v_readlane_b32 s82, v3, 1                                  // 00000000DA9C: D2890052 00010303
	s_lshr_b32 s61, s82, 24                                    // 00000000DAA4: 8F3D9852
	s_and_b32 s82, s82, 0xffffff                               // 00000000DAA8: 8652FF52 00FFFFFF
	s_mul_i32 s82, s82, s71                                    // 00000000DAB0: 92524752
	s_mul_i32 s61, s60, s61                                    // 00000000DAB4: 923D3D3C
	s_add_u32 s82, s82, s61                                    // 00000000DAB8: 80523D52
	v_mul_lo_u32 v7, v4, s82                                   // 00000000DABC: D2850007 0000A504
	v_add_u32_e32 v58, v6, v7                                  // 00000000DAC4: 68740F06
	v_readlane_b32 s82, v3, 2                                  // 00000000DAC8: D2890052 00010503
	s_lshr_b32 s61, s82, 24                                    // 00000000DAD0: 8F3D9852
	s_and_b32 s82, s82, 0xffffff                               // 00000000DAD4: 8652FF52 00FFFFFF
	s_mul_i32 s82, s82, s71                                    // 00000000DADC: 92524752
	s_mul_i32 s61, s60, s61                                    // 00000000DAE0: 923D3D3C
	s_add_u32 s82, s82, s61                                    // 00000000DAE4: 80523D52
	v_mul_lo_u32 v6, v5, s82                                   // 00000000DAE8: D2850006 0000A505
	v_readlane_b32 s82, v3, 3                                  // 00000000DAF0: D2890052 00010703
	s_lshr_b32 s61, s82, 24                                    // 00000000DAF8: 8F3D9852
	s_and_b32 s82, s82, 0xffffff                               // 00000000DAFC: 8652FF52 00FFFFFF
	s_mul_i32 s82, s82, s71                                    // 00000000DB04: 92524752
	s_mul_i32 s61, s60, s61                                    // 00000000DB08: 923D3D3C
	s_add_u32 s82, s82, s61                                    // 00000000DB0C: 80523D52
	v_mul_lo_u32 v7, v4, s82                                   // 00000000DB10: D2850007 0000A504
	v_add_u32_e32 v59, v6, v7                                  // 00000000DB18: 68760F06
	v_readlane_b32 s82, v3, 4                                  // 00000000DB1C: D2890052 00010903
	s_lshr_b32 s61, s82, 24                                    // 00000000DB24: 8F3D9852
	s_and_b32 s82, s82, 0xffffff                               // 00000000DB28: 8652FF52 00FFFFFF
	s_mul_i32 s82, s82, s71                                    // 00000000DB30: 92524752
	s_mul_i32 s61, s60, s61                                    // 00000000DB34: 923D3D3C
	s_add_u32 s82, s82, s61                                    // 00000000DB38: 80523D52
	v_mul_lo_u32 v6, v5, s82                                   // 00000000DB3C: D2850006 0000A505
	v_readlane_b32 s82, v3, 5                                  // 00000000DB44: D2890052 00010B03
	s_lshr_b32 s61, s82, 24                                    // 00000000DB4C: 8F3D9852
	s_and_b32 s82, s82, 0xffffff                               // 00000000DB50: 8652FF52 00FFFFFF
	s_mul_i32 s82, s82, s71                                    // 00000000DB58: 92524752
	s_mul_i32 s61, s60, s61                                    // 00000000DB5C: 923D3D3C
	s_add_u32 s82, s82, s61                                    // 00000000DB60: 80523D52
	v_mul_lo_u32 v7, v4, s82                                   // 00000000DB64: D2850007 0000A504
	v_add_u32_e32 v60, v6, v7                                  // 00000000DB6C: 68780F06
	v_readlane_b32 s82, v3, 6                                  // 00000000DB70: D2890052 00010D03
	s_lshr_b32 s61, s82, 24                                    // 00000000DB78: 8F3D9852
	s_and_b32 s82, s82, 0xffffff                               // 00000000DB7C: 8652FF52 00FFFFFF
	s_mul_i32 s82, s82, s71                                    // 00000000DB84: 92524752
	s_mul_i32 s61, s60, s61                                    // 00000000DB88: 923D3D3C
	s_add_u32 s82, s82, s61                                    // 00000000DB8C: 80523D52
	v_mul_lo_u32 v6, v5, s82                                   // 00000000DB90: D2850006 0000A505
	v_readlane_b32 s82, v3, 7                                  // 00000000DB98: D2890052 00010F03
	s_lshr_b32 s61, s82, 24                                    // 00000000DBA0: 8F3D9852
	s_and_b32 s82, s82, 0xffffff                               // 00000000DBA4: 8652FF52 00FFFFFF
	s_mul_i32 s82, s82, s71                                    // 00000000DBAC: 92524752
	s_mul_i32 s61, s60, s61                                    // 00000000DBB0: 923D3D3C
	s_add_u32 s82, s82, s61                                    // 00000000DBB4: 80523D52
	v_mul_lo_u32 v7, v4, s82                                   // 00000000DBB8: D2850007 0000A504
	v_add_u32_e32 v61, v6, v7                                  // 00000000DBC0: 687A0F06
	v_readlane_b32 s82, v3, 8                                  // 00000000DBC4: D2890052 00011103
	s_lshr_b32 s61, s82, 24                                    // 00000000DBCC: 8F3D9852
	s_and_b32 s82, s82, 0xffffff                               // 00000000DBD0: 8652FF52 00FFFFFF
	s_mul_i32 s82, s82, s71                                    // 00000000DBD8: 92524752
	s_mul_i32 s61, s60, s61                                    // 00000000DBDC: 923D3D3C
	s_add_u32 s82, s82, s61                                    // 00000000DBE0: 80523D52
	v_mul_lo_u32 v6, v5, s82                                   // 00000000DBE4: D2850006 0000A505
	v_readlane_b32 s82, v3, 9                                  // 00000000DBEC: D2890052 00011303
	s_lshr_b32 s61, s82, 24                                    // 00000000DBF4: 8F3D9852
	s_and_b32 s82, s82, 0xffffff                               // 00000000DBF8: 8652FF52 00FFFFFF
	s_mul_i32 s82, s82, s71                                    // 00000000DC00: 92524752
	s_mul_i32 s61, s60, s61                                    // 00000000DC04: 923D3D3C
	s_add_u32 s82, s82, s61                                    // 00000000DC08: 80523D52
	v_mul_lo_u32 v7, v4, s82                                   // 00000000DC0C: D2850007 0000A504
	v_add_u32_e32 v62, v6, v7                                  // 00000000DC14: 687C0F06
	v_readlane_b32 s82, v3, 10                                 // 00000000DC18: D2890052 00011503
	s_lshr_b32 s61, s82, 24                                    // 00000000DC20: 8F3D9852
	s_and_b32 s82, s82, 0xffffff                               // 00000000DC24: 8652FF52 00FFFFFF
	s_mul_i32 s82, s82, s71                                    // 00000000DC2C: 92524752
	s_mul_i32 s61, s60, s61                                    // 00000000DC30: 923D3D3C
	s_add_u32 s82, s82, s61                                    // 00000000DC34: 80523D52
	v_mul_lo_u32 v6, v5, s82                                   // 00000000DC38: D2850006 0000A505
	v_readlane_b32 s82, v3, 11                                 // 00000000DC40: D2890052 00011703
	s_lshr_b32 s61, s82, 24                                    // 00000000DC48: 8F3D9852
	s_and_b32 s82, s82, 0xffffff                               // 00000000DC4C: 8652FF52 00FFFFFF
	s_mul_i32 s82, s82, s71                                    // 00000000DC54: 92524752
	s_mul_i32 s61, s60, s61                                    // 00000000DC58: 923D3D3C
	s_add_u32 s82, s82, s61                                    // 00000000DC5C: 80523D52
	v_mul_lo_u32 v7, v4, s82                                   // 00000000DC60: D2850007 0000A504
	v_add_u32_e32 v63, v6, v7                                  // 00000000DC68: 687E0F06
	v_readlane_b32 s82, v3, 12                                 // 00000000DC6C: D2890052 00011903
	s_lshr_b32 s61, s82, 24                                    // 00000000DC74: 8F3D9852
	s_and_b32 s82, s82, 0xffffff                               // 00000000DC78: 8652FF52 00FFFFFF
	s_mul_i32 s82, s82, s71                                    // 00000000DC80: 92524752
	s_mul_i32 s61, s60, s61                                    // 00000000DC84: 923D3D3C
	s_add_u32 s82, s82, s61                                    // 00000000DC88: 80523D52
	v_mul_lo_u32 v6, v5, s82                                   // 00000000DC8C: D2850006 0000A505
	v_readlane_b32 s82, v3, 13                                 // 00000000DC94: D2890052 00011B03
	s_lshr_b32 s61, s82, 24                                    // 00000000DC9C: 8F3D9852
	s_and_b32 s82, s82, 0xffffff                               // 00000000DCA0: 8652FF52 00FFFFFF
	s_mul_i32 s82, s82, s71                                    // 00000000DCA8: 92524752
	s_mul_i32 s61, s60, s61                                    // 00000000DCAC: 923D3D3C
	s_add_u32 s82, s82, s61                                    // 00000000DCB0: 80523D52
	v_mul_lo_u32 v7, v4, s82                                   // 00000000DCB4: D2850007 0000A504
	v_add_u32_e32 v64, v6, v7                                  // 00000000DCBC: 68800F06
	v_readlane_b32 s82, v3, 14                                 // 00000000DCC0: D2890052 00011D03
	s_lshr_b32 s61, s82, 24                                    // 00000000DCC8: 8F3D9852
	s_and_b32 s82, s82, 0xffffff                               // 00000000DCCC: 8652FF52 00FFFFFF
	s_mul_i32 s82, s82, s71                                    // 00000000DCD4: 92524752
	s_mul_i32 s61, s60, s61                                    // 00000000DCD8: 923D3D3C
	s_add_u32 s82, s82, s61                                    // 00000000DCDC: 80523D52
	v_mul_lo_u32 v6, v5, s82                                   // 00000000DCE0: D2850006 0000A505
	v_readlane_b32 s82, v3, 15                                 // 00000000DCE8: D2890052 00011F03
	s_lshr_b32 s61, s82, 24                                    // 00000000DCF0: 8F3D9852
	s_and_b32 s82, s82, 0xffffff                               // 00000000DCF4: 8652FF52 00FFFFFF
	s_mul_i32 s82, s82, s71                                    // 00000000DCFC: 92524752
	s_mul_i32 s61, s60, s61                                    // 00000000DD00: 923D3D3C
	s_add_u32 s82, s82, s61                                    // 00000000DD04: 80523D52
	v_mul_lo_u32 v7, v4, s82                                   // 00000000DD08: D2850007 0000A504
	v_add_u32_e32 v65, v6, v7                                  // 00000000DD10: 68820F06
	v_readlane_b32 s82, v3, 16                                 // 00000000DD14: D2890052 00012103
	s_lshr_b32 s61, s82, 24                                    // 00000000DD1C: 8F3D9852
	s_and_b32 s82, s82, 0xffffff                               // 00000000DD20: 8652FF52 00FFFFFF
	s_mul_i32 s82, s82, s71                                    // 00000000DD28: 92524752
	s_mul_i32 s61, s60, s61                                    // 00000000DD2C: 923D3D3C
	s_add_u32 s82, s82, s61                                    // 00000000DD30: 80523D52
	v_mul_lo_u32 v6, v5, s82                                   // 00000000DD34: D2850006 0000A505
	v_readlane_b32 s82, v3, 17                                 // 00000000DD3C: D2890052 00012303
	s_lshr_b32 s61, s82, 24                                    // 00000000DD44: 8F3D9852
	s_and_b32 s82, s82, 0xffffff                               // 00000000DD48: 8652FF52 00FFFFFF
	s_mul_i32 s82, s82, s71                                    // 00000000DD50: 92524752
	s_mul_i32 s61, s60, s61                                    // 00000000DD54: 923D3D3C
	s_add_u32 s82, s82, s61                                    // 00000000DD58: 80523D52
	v_mul_lo_u32 v7, v4, s82                                   // 00000000DD5C: D2850007 0000A504
	v_add_u32_e32 v66, v6, v7                                  // 00000000DD64: 68840F06
	v_readlane_b32 s82, v3, 18                                 // 00000000DD68: D2890052 00012503
	s_lshr_b32 s61, s82, 24                                    // 00000000DD70: 8F3D9852
	s_and_b32 s82, s82, 0xffffff                               // 00000000DD74: 8652FF52 00FFFFFF
	s_mul_i32 s82, s82, s71                                    // 00000000DD7C: 92524752
	s_mul_i32 s61, s60, s61                                    // 00000000DD80: 923D3D3C
	s_add_u32 s82, s82, s61                                    // 00000000DD84: 80523D52
	v_mul_lo_u32 v6, v5, s82                                   // 00000000DD88: D2850006 0000A505
	v_readlane_b32 s82, v3, 19                                 // 00000000DD90: D2890052 00012703
	s_lshr_b32 s61, s82, 24                                    // 00000000DD98: 8F3D9852
	s_and_b32 s82, s82, 0xffffff                               // 00000000DD9C: 8652FF52 00FFFFFF
	s_mul_i32 s82, s82, s71                                    // 00000000DDA4: 92524752
	s_mul_i32 s61, s60, s61                                    // 00000000DDA8: 923D3D3C
	s_add_u32 s82, s82, s61                                    // 00000000DDAC: 80523D52
	v_mul_lo_u32 v7, v4, s82                                   // 00000000DDB0: D2850007 0000A504
	v_add_u32_e32 v67, v6, v7                                  // 00000000DDB8: 68860F06
	v_readlane_b32 s82, v3, 20                                 // 00000000DDBC: D2890052 00012903
	s_lshr_b32 s61, s82, 24                                    // 00000000DDC4: 8F3D9852
	s_and_b32 s82, s82, 0xffffff                               // 00000000DDC8: 8652FF52 00FFFFFF
	s_mul_i32 s82, s82, s71                                    // 00000000DDD0: 92524752
	s_mul_i32 s61, s60, s61                                    // 00000000DDD4: 923D3D3C
	s_add_u32 s82, s82, s61                                    // 00000000DDD8: 80523D52
	v_mul_lo_u32 v6, v5, s82                                   // 00000000DDDC: D2850006 0000A505
	v_readlane_b32 s82, v3, 21                                 // 00000000DDE4: D2890052 00012B03
	s_lshr_b32 s61, s82, 24                                    // 00000000DDEC: 8F3D9852
	s_and_b32 s82, s82, 0xffffff                               // 00000000DDF0: 8652FF52 00FFFFFF
	s_mul_i32 s82, s82, s71                                    // 00000000DDF8: 92524752
	s_mul_i32 s61, s60, s61                                    // 00000000DDFC: 923D3D3C
	s_add_u32 s82, s82, s61                                    // 00000000DE00: 80523D52
	v_mul_lo_u32 v7, v4, s82                                   // 00000000DE04: D2850007 0000A504
	v_add_u32_e32 v68, v6, v7                                  // 00000000DE0C: 68880F06
	v_readlane_b32 s82, v3, 22                                 // 00000000DE10: D2890052 00012D03
	s_lshr_b32 s61, s82, 24                                    // 00000000DE18: 8F3D9852
	s_and_b32 s82, s82, 0xffffff                               // 00000000DE1C: 8652FF52 00FFFFFF
	s_mul_i32 s82, s82, s71                                    // 00000000DE24: 92524752
	s_mul_i32 s61, s60, s61                                    // 00000000DE28: 923D3D3C
	s_add_u32 s82, s82, s61                                    // 00000000DE2C: 80523D52
	v_mul_lo_u32 v6, v5, s82                                   // 00000000DE30: D2850006 0000A505
	v_readlane_b32 s82, v3, 23                                 // 00000000DE38: D2890052 00012F03
	s_lshr_b32 s61, s82, 24                                    // 00000000DE40: 8F3D9852
	s_and_b32 s82, s82, 0xffffff                               // 00000000DE44: 8652FF52 00FFFFFF
	s_mul_i32 s82, s82, s71                                    // 00000000DE4C: 92524752
	s_mul_i32 s61, s60, s61                                    // 00000000DE50: 923D3D3C
	s_add_u32 s82, s82, s61                                    // 00000000DE54: 80523D52
	v_mul_lo_u32 v7, v4, s82                                   // 00000000DE58: D2850007 0000A504
	v_add_u32_e32 v69, v6, v7                                  // 00000000DE60: 688A0F06
	v_readlane_b32 s82, v3, 24                                 // 00000000DE64: D2890052 00013103
	s_lshr_b32 s61, s82, 24                                    // 00000000DE6C: 8F3D9852
	s_and_b32 s82, s82, 0xffffff                               // 00000000DE70: 8652FF52 00FFFFFF
	s_mul_i32 s82, s82, s71                                    // 00000000DE78: 92524752
	s_mul_i32 s61, s60, s61                                    // 00000000DE7C: 923D3D3C
	s_add_u32 s82, s82, s61                                    // 00000000DE80: 80523D52
	v_mul_lo_u32 v6, v5, s82                                   // 00000000DE84: D2850006 0000A505
	v_readlane_b32 s82, v3, 25                                 // 00000000DE8C: D2890052 00013303
	s_lshr_b32 s61, s82, 24                                    // 00000000DE94: 8F3D9852
	s_and_b32 s82, s82, 0xffffff                               // 00000000DE98: 8652FF52 00FFFFFF
	s_mul_i32 s82, s82, s71                                    // 00000000DEA0: 92524752
	s_mul_i32 s61, s60, s61                                    // 00000000DEA4: 923D3D3C
	s_add_u32 s82, s82, s61                                    // 00000000DEA8: 80523D52
	v_mul_lo_u32 v7, v4, s82                                   // 00000000DEAC: D2850007 0000A504
	v_add_u32_e32 v70, v6, v7                                  // 00000000DEB4: 688C0F06
	v_readlane_b32 s82, v3, 26                                 // 00000000DEB8: D2890052 00013503
	s_lshr_b32 s61, s82, 24                                    // 00000000DEC0: 8F3D9852
	s_and_b32 s82, s82, 0xffffff                               // 00000000DEC4: 8652FF52 00FFFFFF
	s_mul_i32 s82, s82, s71                                    // 00000000DECC: 92524752
	s_mul_i32 s61, s60, s61                                    // 00000000DED0: 923D3D3C
	s_add_u32 s82, s82, s61                                    // 00000000DED4: 80523D52
	v_mul_lo_u32 v6, v5, s82                                   // 00000000DED8: D2850006 0000A505
	v_readlane_b32 s82, v3, 27                                 // 00000000DEE0: D2890052 00013703
	s_lshr_b32 s61, s82, 24                                    // 00000000DEE8: 8F3D9852
	s_and_b32 s82, s82, 0xffffff                               // 00000000DEEC: 8652FF52 00FFFFFF
	s_mul_i32 s82, s82, s71                                    // 00000000DEF4: 92524752
	s_mul_i32 s61, s60, s61                                    // 00000000DEF8: 923D3D3C
	s_add_u32 s82, s82, s61                                    // 00000000DEFC: 80523D52
	v_mul_lo_u32 v7, v4, s82                                   // 00000000DF00: D2850007 0000A504
	v_add_u32_e32 v71, v6, v7                                  // 00000000DF08: 688E0F06
	v_and_b32_e32 v4, 31, v0                                   // 00000000DF0C: 2608009F
	v_lshrrev_b32_e32 v4, 1, v4                                // 00000000DF10: 20080881
	s_cmp_eq_u32 s88, 0                                        // 00000000DF14: BF068058
	s_cselect_b32 s61, 2, 4                                    // 00000000DF18: 853D8482
	v_mul_lo_u32 v4, v4, s61                                   // 00000000DF1C: D2850004 00007B04
	v_and_b32_e64 v5, v0, 1                                    // 00000000DF24: D1130005 00010300
	v_add_u32_e32 v4, v4, v5                                   // 00000000DF2C: 68080B04
	v_lshlrev_b32_e32 v4, 2, v4                                // 00000000DF30: 24080882
	v_add_u32_e32 v58, v58, v4                                 // 00000000DF34: 6874093A
	v_add_u32_e32 v59, v59, v4                                 // 00000000DF38: 6876093B
	v_add_u32_e32 v60, v60, v4                                 // 00000000DF3C: 6878093C
	v_add_u32_e32 v61, v61, v4                                 // 00000000DF40: 687A093D
	v_add_u32_e32 v62, v62, v4                                 // 00000000DF44: 687C093E
	v_add_u32_e32 v63, v63, v4                                 // 00000000DF48: 687E093F
	v_add_u32_e32 v64, v64, v4                                 // 00000000DF4C: 68800940
	v_add_u32_e32 v65, v65, v4                                 // 00000000DF50: 68820941
	v_add_u32_e32 v66, v66, v4                                 // 00000000DF54: 68840942
	v_add_u32_e32 v67, v67, v4                                 // 00000000DF58: 68860943
	v_add_u32_e32 v68, v68, v4                                 // 00000000DF5C: 68880944
	v_add_u32_e32 v69, v69, v4                                 // 00000000DF60: 688A0945
	v_add_u32_e32 v70, v70, v4                                 // 00000000DF64: 688C0946
	v_add_u32_e32 v71, v71, v4                                 // 00000000DF68: 688E0947
	s_waitcnt lgkmcnt(0)                                       // 00000000DF6C: BF8CC07F
	s_barrier                                                  // 00000000DF70: BF8A0000
	ds_read_b32 v76, v21                                       // 00000000DF74: D86C0000 4C000015
	ds_read_b32 v77, v21 offset:64                             // 00000000DF7C: D86C0040 4D000015
	ds_read_b32 v78, v21 offset:2176                           // 00000000DF84: D86C0880 4E000015
	ds_read_b32 v79, v21 offset:2240                           // 00000000DF8C: D86C08C0 4F000015
	ds_read_b32 v80, v21 offset:4352                           // 00000000DF94: D86C1100 50000015
	ds_read_b32 v81, v21 offset:4416                           // 00000000DF9C: D86C1140 51000015
	ds_read_b32 v82, v21 offset:6528                           // 00000000DFA4: D86C1980 52000015
	ds_read_b32 v83, v21 offset:6592                           // 00000000DFAC: D86C19C0 53000015
	ds_read_b32 v84, v21 offset:8704                           // 00000000DFB4: D86C2200 54000015
	ds_read_b32 v85, v21 offset:8768                           // 00000000DFBC: D86C2240 55000015
	ds_read_b32 v86, v21 offset:10880                          // 00000000DFC4: D86C2A80 56000015
	ds_read_b32 v87, v21 offset:10944                          // 00000000DFCC: D86C2AC0 57000015
	ds_read_b32 v88, v21 offset:13056                          // 00000000DFD4: D86C3300 58000015
	ds_read_b32 v89, v21 offset:13120                          // 00000000DFDC: D86C3340 59000015
	ds_read_b32 v90, v21 offset:15232                          // 00000000DFE4: D86C3B80 5A000015
	ds_read_b32 v91, v21 offset:15296                          // 00000000DFEC: D86C3BC0 5B000015
	ds_read_b32 v92, v21 offset:17408                          // 00000000DFF4: D86C4400 5C000015
	ds_read_b32 v93, v21 offset:17472                          // 00000000DFFC: D86C4440 5D000015
	ds_read_b32 v94, v21 offset:19584                          // 00000000E004: D86C4C80 5E000015
	ds_read_b32 v95, v21 offset:19648                          // 00000000E00C: D86C4CC0 5F000015
	ds_read_b32 v96, v21 offset:21760                          // 00000000E014: D86C5500 60000015
	ds_read_b32 v97, v21 offset:21824                          // 00000000E01C: D86C5540 61000015
	ds_read_b32 v98, v21 offset:23936                          // 00000000E024: D86C5D80 62000015
	ds_read_b32 v99, v21 offset:24000                          // 00000000E02C: D86C5DC0 63000015
	ds_read_b32 v100, v21 offset:26112                         // 00000000E034: D86C6600 64000015
	ds_read_b32 v101, v21 offset:26176                         // 00000000E03C: D86C6640 65000015
	ds_read_b32 v102, v21 offset:28288                         // 00000000E044: D86C6E80 66000015
	ds_read_b32 v103, v21 offset:28352                         // 00000000E04C: D86C6EC0 67000015
	s_waitcnt lgkmcnt(0)                                       // 00000000E054: BF8CC07F
	s_mov_b32 s36, -1                                          // 00000000E058: BEA400C1
	s_mov_b32 s37, -1                                          // 00000000E05C: BEA500C1
	v_mov_b32_e32 v7, 0                                        // 00000000E060: 7E0E0280
	s_or_b32 s9, s9, 0x40000                                   // 00000000E064: 8709FF09 00040000
	s_mov_b64 exec, s[36:37]                                   // 00000000E06C: BEFE0124
	v_mov_b32_e32 v6, v58                                      // 00000000E070: 7E0C033A
	s_mov_b64 s[60:61], 0                                      // 00000000E074: BEBC0180
	v_readlane_b32 s82, v3, 0                                  // 00000000E078: D2890052 00010103
	s_and_b32 s82, s82, 0xffffff                               // 00000000E080: 8652FF52 00FFFFFF
	s_cmp_lt_u32 s82, s66                                      // 00000000E088: BF0A4252
	s_cselect_b32 s20, s36, s60                                // 00000000E08C: 85143C24
	v_readlane_b32 s82, v3, 1                                  // 00000000E090: D2890052 00010303
	s_and_b32 s82, s82, 0xffffff                               // 00000000E098: 8652FF52 00FFFFFF
	s_cmp_lt_u32 s82, s66                                      // 00000000E0A0: BF0A4252
	s_cselect_b32 s21, s36, s60                                // 00000000E0A4: 85153C24
	s_mov_b64 exec, s[20:21]                                   // 00000000E0A8: BEFE0114
	buffer_store_dword v76, v6, s[8:11], 0 offen               // 00000000E0AC: E0701000 80024C06
	buffer_store_dword v78, v6, s[8:11], 0 offen offset:128    // 00000000E0B4: E0701080 80024E06
	s_mov_b64 exec, s[36:37]                                   // 00000000E0BC: BEFE0124
	v_mov_b32_e32 v6, v59                                      // 00000000E0C0: 7E0C033B
	s_mov_b64 s[60:61], 0                                      // 00000000E0C4: BEBC0180
	v_readlane_b32 s82, v3, 2                                  // 00000000E0C8: D2890052 00010503
	s_and_b32 s82, s82, 0xffffff                               // 00000000E0D0: 8652FF52 00FFFFFF
	s_cmp_lt_u32 s82, s66                                      // 00000000E0D8: BF0A4252
	s_cselect_b32 s20, s36, s60                                // 00000000E0DC: 85143C24
	v_readlane_b32 s82, v3, 3                                  // 00000000E0E0: D2890052 00010703
	s_and_b32 s82, s82, 0xffffff                               // 00000000E0E8: 8652FF52 00FFFFFF
	s_cmp_lt_u32 s82, s66                                      // 00000000E0F0: BF0A4252
	s_cselect_b32 s21, s36, s60                                // 00000000E0F4: 85153C24
	s_mov_b64 exec, s[20:21]                                   // 00000000E0F8: BEFE0114
	buffer_store_dword v77, v6, s[8:11], 0 offen               // 00000000E0FC: E0701000 80024D06
	buffer_store_dword v79, v6, s[8:11], 0 offen offset:128    // 00000000E104: E0701080 80024F06
	s_mov_b64 exec, s[36:37]                                   // 00000000E10C: BEFE0124
	v_mov_b32_e32 v6, v60                                      // 00000000E110: 7E0C033C
	s_mov_b64 s[60:61], 0                                      // 00000000E114: BEBC0180
	v_readlane_b32 s82, v3, 4                                  // 00000000E118: D2890052 00010903
	s_and_b32 s82, s82, 0xffffff                               // 00000000E120: 8652FF52 00FFFFFF
	s_cmp_lt_u32 s82, s66                                      // 00000000E128: BF0A4252
	s_cselect_b32 s20, s36, s60                                // 00000000E12C: 85143C24
	v_readlane_b32 s82, v3, 5                                  // 00000000E130: D2890052 00010B03
	s_and_b32 s82, s82, 0xffffff                               // 00000000E138: 8652FF52 00FFFFFF
	s_cmp_lt_u32 s82, s66                                      // 00000000E140: BF0A4252
	s_cselect_b32 s21, s36, s60                                // 00000000E144: 85153C24
	s_mov_b64 exec, s[20:21]                                   // 00000000E148: BEFE0114
	buffer_store_dword v80, v6, s[8:11], 0 offen               // 00000000E14C: E0701000 80025006
	buffer_store_dword v82, v6, s[8:11], 0 offen offset:128    // 00000000E154: E0701080 80025206
	s_mov_b64 exec, s[36:37]                                   // 00000000E15C: BEFE0124
	v_mov_b32_e32 v6, v61                                      // 00000000E160: 7E0C033D
	s_mov_b64 s[60:61], 0                                      // 00000000E164: BEBC0180
	v_readlane_b32 s82, v3, 6                                  // 00000000E168: D2890052 00010D03
	s_and_b32 s82, s82, 0xffffff                               // 00000000E170: 8652FF52 00FFFFFF
	s_cmp_lt_u32 s82, s66                                      // 00000000E178: BF0A4252
	s_cselect_b32 s20, s36, s60                                // 00000000E17C: 85143C24
	v_readlane_b32 s82, v3, 7                                  // 00000000E180: D2890052 00010F03
	s_and_b32 s82, s82, 0xffffff                               // 00000000E188: 8652FF52 00FFFFFF
	s_cmp_lt_u32 s82, s66                                      // 00000000E190: BF0A4252
	s_cselect_b32 s21, s36, s60                                // 00000000E194: 85153C24
	s_mov_b64 exec, s[20:21]                                   // 00000000E198: BEFE0114
	buffer_store_dword v81, v6, s[8:11], 0 offen               // 00000000E19C: E0701000 80025106
	buffer_store_dword v83, v6, s[8:11], 0 offen offset:128    // 00000000E1A4: E0701080 80025306
	s_mov_b64 exec, s[36:37]                                   // 00000000E1AC: BEFE0124
	v_mov_b32_e32 v6, v62                                      // 00000000E1B0: 7E0C033E
	s_mov_b64 s[60:61], 0                                      // 00000000E1B4: BEBC0180
	v_readlane_b32 s82, v3, 8                                  // 00000000E1B8: D2890052 00011103
	s_and_b32 s82, s82, 0xffffff                               // 00000000E1C0: 8652FF52 00FFFFFF
	s_cmp_lt_u32 s82, s66                                      // 00000000E1C8: BF0A4252
	s_cselect_b32 s20, s36, s60                                // 00000000E1CC: 85143C24
	v_readlane_b32 s82, v3, 9                                  // 00000000E1D0: D2890052 00011303
	s_and_b32 s82, s82, 0xffffff                               // 00000000E1D8: 8652FF52 00FFFFFF
	s_cmp_lt_u32 s82, s66                                      // 00000000E1E0: BF0A4252
	s_cselect_b32 s21, s36, s60                                // 00000000E1E4: 85153C24
	s_mov_b64 exec, s[20:21]                                   // 00000000E1E8: BEFE0114
	buffer_store_dword v84, v6, s[8:11], 0 offen               // 00000000E1EC: E0701000 80025406
	buffer_store_dword v86, v6, s[8:11], 0 offen offset:128    // 00000000E1F4: E0701080 80025606
	s_mov_b64 exec, s[36:37]                                   // 00000000E1FC: BEFE0124
	v_mov_b32_e32 v6, v63                                      // 00000000E200: 7E0C033F
	s_mov_b64 s[60:61], 0                                      // 00000000E204: BEBC0180
	v_readlane_b32 s82, v3, 10                                 // 00000000E208: D2890052 00011503
	s_and_b32 s82, s82, 0xffffff                               // 00000000E210: 8652FF52 00FFFFFF
	s_cmp_lt_u32 s82, s66                                      // 00000000E218: BF0A4252
	s_cselect_b32 s20, s36, s60                                // 00000000E21C: 85143C24
	v_readlane_b32 s82, v3, 11                                 // 00000000E220: D2890052 00011703
	s_and_b32 s82, s82, 0xffffff                               // 00000000E228: 8652FF52 00FFFFFF
	s_cmp_lt_u32 s82, s66                                      // 00000000E230: BF0A4252
	s_cselect_b32 s21, s36, s60                                // 00000000E234: 85153C24
	s_mov_b64 exec, s[20:21]                                   // 00000000E238: BEFE0114
	buffer_store_dword v85, v6, s[8:11], 0 offen               // 00000000E23C: E0701000 80025506
	buffer_store_dword v87, v6, s[8:11], 0 offen offset:128    // 00000000E244: E0701080 80025706
	s_mov_b64 exec, s[36:37]                                   // 00000000E24C: BEFE0124
	v_mov_b32_e32 v6, v64                                      // 00000000E250: 7E0C0340
	s_mov_b64 s[60:61], 0                                      // 00000000E254: BEBC0180
	v_readlane_b32 s82, v3, 12                                 // 00000000E258: D2890052 00011903
	s_and_b32 s82, s82, 0xffffff                               // 00000000E260: 8652FF52 00FFFFFF
	s_cmp_lt_u32 s82, s66                                      // 00000000E268: BF0A4252
	s_cselect_b32 s20, s36, s60                                // 00000000E26C: 85143C24
	v_readlane_b32 s82, v3, 13                                 // 00000000E270: D2890052 00011B03
	s_and_b32 s82, s82, 0xffffff                               // 00000000E278: 8652FF52 00FFFFFF
	s_cmp_lt_u32 s82, s66                                      // 00000000E280: BF0A4252
	s_cselect_b32 s21, s36, s60                                // 00000000E284: 85153C24
	s_mov_b64 exec, s[20:21]                                   // 00000000E288: BEFE0114
	buffer_store_dword v88, v6, s[8:11], 0 offen               // 00000000E28C: E0701000 80025806
	buffer_store_dword v90, v6, s[8:11], 0 offen offset:128    // 00000000E294: E0701080 80025A06
	s_mov_b64 exec, s[36:37]                                   // 00000000E29C: BEFE0124
	v_mov_b32_e32 v6, v65                                      // 00000000E2A0: 7E0C0341
	s_mov_b64 s[60:61], 0                                      // 00000000E2A4: BEBC0180
	v_readlane_b32 s82, v3, 14                                 // 00000000E2A8: D2890052 00011D03
	s_and_b32 s82, s82, 0xffffff                               // 00000000E2B0: 8652FF52 00FFFFFF
	s_cmp_lt_u32 s82, s66                                      // 00000000E2B8: BF0A4252
	s_cselect_b32 s20, s36, s60                                // 00000000E2BC: 85143C24
	v_readlane_b32 s82, v3, 15                                 // 00000000E2C0: D2890052 00011F03
	s_and_b32 s82, s82, 0xffffff                               // 00000000E2C8: 8652FF52 00FFFFFF
	s_cmp_lt_u32 s82, s66                                      // 00000000E2D0: BF0A4252
	s_cselect_b32 s21, s36, s60                                // 00000000E2D4: 85153C24
	s_mov_b64 exec, s[20:21]                                   // 00000000E2D8: BEFE0114
	buffer_store_dword v89, v6, s[8:11], 0 offen               // 00000000E2DC: E0701000 80025906
	buffer_store_dword v91, v6, s[8:11], 0 offen offset:128    // 00000000E2E4: E0701080 80025B06
	s_mov_b64 exec, s[36:37]                                   // 00000000E2EC: BEFE0124
	v_mov_b32_e32 v6, v66                                      // 00000000E2F0: 7E0C0342
	s_mov_b64 s[60:61], 0                                      // 00000000E2F4: BEBC0180
	v_readlane_b32 s82, v3, 16                                 // 00000000E2F8: D2890052 00012103
	s_and_b32 s82, s82, 0xffffff                               // 00000000E300: 8652FF52 00FFFFFF
	s_cmp_lt_u32 s82, s66                                      // 00000000E308: BF0A4252
	s_cselect_b32 s20, s36, s60                                // 00000000E30C: 85143C24
	v_readlane_b32 s82, v3, 17                                 // 00000000E310: D2890052 00012303
	s_and_b32 s82, s82, 0xffffff                               // 00000000E318: 8652FF52 00FFFFFF
	s_cmp_lt_u32 s82, s66                                      // 00000000E320: BF0A4252
	s_cselect_b32 s21, s36, s60                                // 00000000E324: 85153C24
	s_mov_b64 exec, s[20:21]                                   // 00000000E328: BEFE0114
	buffer_store_dword v92, v6, s[8:11], 0 offen               // 00000000E32C: E0701000 80025C06
	buffer_store_dword v94, v6, s[8:11], 0 offen offset:128    // 00000000E334: E0701080 80025E06
	s_mov_b64 exec, s[36:37]                                   // 00000000E33C: BEFE0124
	v_mov_b32_e32 v6, v67                                      // 00000000E340: 7E0C0343
	s_mov_b64 s[60:61], 0                                      // 00000000E344: BEBC0180
	v_readlane_b32 s82, v3, 18                                 // 00000000E348: D2890052 00012503
	s_and_b32 s82, s82, 0xffffff                               // 00000000E350: 8652FF52 00FFFFFF
	s_cmp_lt_u32 s82, s66                                      // 00000000E358: BF0A4252
	s_cselect_b32 s20, s36, s60                                // 00000000E35C: 85143C24
	v_readlane_b32 s82, v3, 19                                 // 00000000E360: D2890052 00012703
	s_and_b32 s82, s82, 0xffffff                               // 00000000E368: 8652FF52 00FFFFFF
	s_cmp_lt_u32 s82, s66                                      // 00000000E370: BF0A4252
	s_cselect_b32 s21, s36, s60                                // 00000000E374: 85153C24
	s_mov_b64 exec, s[20:21]                                   // 00000000E378: BEFE0114
	buffer_store_dword v93, v6, s[8:11], 0 offen               // 00000000E37C: E0701000 80025D06
	buffer_store_dword v95, v6, s[8:11], 0 offen offset:128    // 00000000E384: E0701080 80025F06
	s_mov_b64 exec, s[36:37]                                   // 00000000E38C: BEFE0124
	v_mov_b32_e32 v6, v68                                      // 00000000E390: 7E0C0344
	s_mov_b64 s[60:61], 0                                      // 00000000E394: BEBC0180
	v_readlane_b32 s82, v3, 20                                 // 00000000E398: D2890052 00012903
	s_and_b32 s82, s82, 0xffffff                               // 00000000E3A0: 8652FF52 00FFFFFF
	s_cmp_lt_u32 s82, s66                                      // 00000000E3A8: BF0A4252
	s_cselect_b32 s20, s36, s60                                // 00000000E3AC: 85143C24
	v_readlane_b32 s82, v3, 21                                 // 00000000E3B0: D2890052 00012B03
	s_and_b32 s82, s82, 0xffffff                               // 00000000E3B8: 8652FF52 00FFFFFF
	s_cmp_lt_u32 s82, s66                                      // 00000000E3C0: BF0A4252
	s_cselect_b32 s21, s36, s60                                // 00000000E3C4: 85153C24
	s_mov_b64 exec, s[20:21]                                   // 00000000E3C8: BEFE0114
	buffer_store_dword v96, v6, s[8:11], 0 offen               // 00000000E3CC: E0701000 80026006
	buffer_store_dword v98, v6, s[8:11], 0 offen offset:128    // 00000000E3D4: E0701080 80026206
	s_mov_b64 exec, s[36:37]                                   // 00000000E3DC: BEFE0124
	v_mov_b32_e32 v6, v69                                      // 00000000E3E0: 7E0C0345
	s_mov_b64 s[60:61], 0                                      // 00000000E3E4: BEBC0180
	v_readlane_b32 s82, v3, 22                                 // 00000000E3E8: D2890052 00012D03
	s_and_b32 s82, s82, 0xffffff                               // 00000000E3F0: 8652FF52 00FFFFFF
	s_cmp_lt_u32 s82, s66                                      // 00000000E3F8: BF0A4252
	s_cselect_b32 s20, s36, s60                                // 00000000E3FC: 85143C24
	v_readlane_b32 s82, v3, 23                                 // 00000000E400: D2890052 00012F03
	s_and_b32 s82, s82, 0xffffff                               // 00000000E408: 8652FF52 00FFFFFF
	s_cmp_lt_u32 s82, s66                                      // 00000000E410: BF0A4252
	s_cselect_b32 s21, s36, s60                                // 00000000E414: 85153C24
	s_mov_b64 exec, s[20:21]                                   // 00000000E418: BEFE0114
	buffer_store_dword v97, v6, s[8:11], 0 offen               // 00000000E41C: E0701000 80026106
	buffer_store_dword v99, v6, s[8:11], 0 offen offset:128    // 00000000E424: E0701080 80026306
	s_mov_b64 exec, s[36:37]                                   // 00000000E42C: BEFE0124
	v_mov_b32_e32 v6, v70                                      // 00000000E430: 7E0C0346
	s_mov_b64 s[60:61], 0                                      // 00000000E434: BEBC0180
	v_readlane_b32 s82, v3, 24                                 // 00000000E438: D2890052 00013103
	s_and_b32 s82, s82, 0xffffff                               // 00000000E440: 8652FF52 00FFFFFF
	s_cmp_lt_u32 s82, s66                                      // 00000000E448: BF0A4252
	s_cselect_b32 s20, s36, s60                                // 00000000E44C: 85143C24
	v_readlane_b32 s82, v3, 25                                 // 00000000E450: D2890052 00013303
	s_and_b32 s82, s82, 0xffffff                               // 00000000E458: 8652FF52 00FFFFFF
	s_cmp_lt_u32 s82, s66                                      // 00000000E460: BF0A4252
	s_cselect_b32 s21, s36, s60                                // 00000000E464: 85153C24
	s_mov_b64 exec, s[20:21]                                   // 00000000E468: BEFE0114
	buffer_store_dword v100, v6, s[8:11], 0 offen              // 00000000E46C: E0701000 80026406
	buffer_store_dword v102, v6, s[8:11], 0 offen offset:128   // 00000000E474: E0701080 80026606
	s_mov_b64 exec, s[36:37]                                   // 00000000E47C: BEFE0124
	v_mov_b32_e32 v6, v71                                      // 00000000E480: 7E0C0347
	s_mov_b64 s[60:61], 0                                      // 00000000E484: BEBC0180
	v_readlane_b32 s82, v3, 26                                 // 00000000E488: D2890052 00013503
	s_and_b32 s82, s82, 0xffffff                               // 00000000E490: 8652FF52 00FFFFFF
	s_cmp_lt_u32 s82, s66                                      // 00000000E498: BF0A4252
	s_cselect_b32 s20, s36, s60                                // 00000000E49C: 85143C24
	v_readlane_b32 s82, v3, 27                                 // 00000000E4A0: D2890052 00013703
	s_and_b32 s82, s82, 0xffffff                               // 00000000E4A8: 8652FF52 00FFFFFF
	s_cmp_lt_u32 s82, s66                                      // 00000000E4B0: BF0A4252
	s_cselect_b32 s21, s36, s60                                // 00000000E4B4: 85153C24
	s_mov_b64 exec, s[20:21]                                   // 00000000E4B8: BEFE0114
	buffer_store_dword v101, v6, s[8:11], 0 offen              // 00000000E4BC: E0701000 80026506
	buffer_store_dword v103, v6, s[8:11], 0 offen offset:128   // 00000000E4C4: E0701080 80026706
	s_mov_b64 exec, s[36:37]                                   // 00000000E4CC: BEFE0124
	s_branch label_35C6                                        // 00000000E4D0: BF82070E

000000000000e4d4 <label_2EB8>:
	ds_write_b64 v20, v[76:77]                                 // 00000000E4D4: D89A0000 00004C14
	ds_write_b64 v20, v[80:81] offset:4352                     // 00000000E4DC: D89A1100 00005014
	ds_write_b64 v20, v[84:85] offset:8704                     // 00000000E4E4: D89A2200 00005414
	ds_write_b64 v20, v[88:89] offset:13056                    // 00000000E4EC: D89A3300 00005814
	ds_write_b64 v20, v[92:93] offset:17408                    // 00000000E4F4: D89A4400 00005C14
	ds_write_b64 v20, v[96:97] offset:21760                    // 00000000E4FC: D89A5500 00006014
	ds_write_b64 v20, v[100:101] offset:26112                  // 00000000E504: D89A6600 00006414
	ds_write_b64 v20, v[104:105] offset:2176                   // 00000000E50C: D89A0880 00006814
	ds_write_b64 v20, v[108:109] offset:6528                   // 00000000E514: D89A1980 00006C14
	ds_write_b64 v20, v[112:113] offset:10880                  // 00000000E51C: D89A2A80 00007014
	ds_write_b64 v20, v[116:117] offset:15232                  // 00000000E524: D89A3B80 00007414
	ds_write_b64 v20, v[120:121] offset:19584                  // 00000000E52C: D89A4C80 00007814
	ds_write_b64 v20, v[124:125] offset:23936                  // 00000000E534: D89A5D80 00007C14
	ds_write_b64 v20, v[128:129] offset:28288                  // 00000000E53C: D89A6E80 00008014
	v_lshrrev_b32_e32 v4, 5, v0                                // 00000000E544: 20080085
	v_xor_b32_e32 v5, 1, v4                                    // 00000000E548: 2A0A0881
	s_mul_i32 s60, s65, 2                                      // 00000000E54C: 923C8241
	s_cmp_eq_u32 s88, 0                                        // 00000000E550: BF068058
	s_cselect_b32 s61, 1, 4                                    // 00000000E554: 853D8481
	s_mul_i32 s60, s61, s60                                    // 00000000E558: 923C3C3D
	v_readlane_b32 s82, v3, 0                                  // 00000000E55C: D2890052 00010103
	s_lshr_b32 s61, s82, 24                                    // 00000000E564: 8F3D9852
	s_and_b32 s82, s82, 0xffffff                               // 00000000E568: 8652FF52 00FFFFFF
	s_mul_i32 s82, s82, s71                                    // 00000000E570: 92524752
	s_mul_i32 s61, s60, s61                                    // 00000000E574: 923D3D3C
	s_add_u32 s82, s82, s61                                    // 00000000E578: 80523D52
	v_mul_lo_u32 v6, v5, s82                                   // 00000000E57C: D2850006 0000A505
	v_readlane_b32 s82, v3, 1                                  // 00000000E584: D2890052 00010303
	s_lshr_b32 s61, s82, 24                                    // 00000000E58C: 8F3D9852
	s_and_b32 s82, s82, 0xffffff                               // 00000000E590: 8652FF52 00FFFFFF
	s_mul_i32 s82, s82, s71                                    // 00000000E598: 92524752
	s_mul_i32 s61, s60, s61                                    // 00000000E59C: 923D3D3C
	s_add_u32 s82, s82, s61                                    // 00000000E5A0: 80523D52
	v_mul_lo_u32 v7, v4, s82                                   // 00000000E5A4: D2850007 0000A504
	v_add_u32_e32 v58, v6, v7                                  // 00000000E5AC: 68740F06
	v_readlane_b32 s82, v3, 2                                  // 00000000E5B0: D2890052 00010503
	s_lshr_b32 s61, s82, 24                                    // 00000000E5B8: 8F3D9852
	s_and_b32 s82, s82, 0xffffff                               // 00000000E5BC: 8652FF52 00FFFFFF
	s_mul_i32 s82, s82, s71                                    // 00000000E5C4: 92524752
	s_mul_i32 s61, s60, s61                                    // 00000000E5C8: 923D3D3C
	s_add_u32 s82, s82, s61                                    // 00000000E5CC: 80523D52
	v_mul_lo_u32 v6, v5, s82                                   // 00000000E5D0: D2850006 0000A505
	v_readlane_b32 s82, v3, 3                                  // 00000000E5D8: D2890052 00010703
	s_lshr_b32 s61, s82, 24                                    // 00000000E5E0: 8F3D9852
	s_and_b32 s82, s82, 0xffffff                               // 00000000E5E4: 8652FF52 00FFFFFF
	s_mul_i32 s82, s82, s71                                    // 00000000E5EC: 92524752
	s_mul_i32 s61, s60, s61                                    // 00000000E5F0: 923D3D3C
	s_add_u32 s82, s82, s61                                    // 00000000E5F4: 80523D52
	v_mul_lo_u32 v7, v4, s82                                   // 00000000E5F8: D2850007 0000A504
	v_add_u32_e32 v59, v6, v7                                  // 00000000E600: 68760F06
	v_readlane_b32 s82, v3, 4                                  // 00000000E604: D2890052 00010903
	s_lshr_b32 s61, s82, 24                                    // 00000000E60C: 8F3D9852
	s_and_b32 s82, s82, 0xffffff                               // 00000000E610: 8652FF52 00FFFFFF
	s_mul_i32 s82, s82, s71                                    // 00000000E618: 92524752
	s_mul_i32 s61, s60, s61                                    // 00000000E61C: 923D3D3C
	s_add_u32 s82, s82, s61                                    // 00000000E620: 80523D52
	v_mul_lo_u32 v6, v5, s82                                   // 00000000E624: D2850006 0000A505
	v_readlane_b32 s82, v3, 5                                  // 00000000E62C: D2890052 00010B03
	s_lshr_b32 s61, s82, 24                                    // 00000000E634: 8F3D9852
	s_and_b32 s82, s82, 0xffffff                               // 00000000E638: 8652FF52 00FFFFFF
	s_mul_i32 s82, s82, s71                                    // 00000000E640: 92524752
	s_mul_i32 s61, s60, s61                                    // 00000000E644: 923D3D3C
	s_add_u32 s82, s82, s61                                    // 00000000E648: 80523D52
	v_mul_lo_u32 v7, v4, s82                                   // 00000000E64C: D2850007 0000A504
	v_add_u32_e32 v60, v6, v7                                  // 00000000E654: 68780F06
	v_readlane_b32 s82, v3, 6                                  // 00000000E658: D2890052 00010D03
	s_lshr_b32 s61, s82, 24                                    // 00000000E660: 8F3D9852
	s_and_b32 s82, s82, 0xffffff                               // 00000000E664: 8652FF52 00FFFFFF
	s_mul_i32 s82, s82, s71                                    // 00000000E66C: 92524752
	s_mul_i32 s61, s60, s61                                    // 00000000E670: 923D3D3C
	s_add_u32 s82, s82, s61                                    // 00000000E674: 80523D52
	v_mul_lo_u32 v6, v5, s82                                   // 00000000E678: D2850006 0000A505
	v_readlane_b32 s82, v3, 7                                  // 00000000E680: D2890052 00010F03
	s_lshr_b32 s61, s82, 24                                    // 00000000E688: 8F3D9852
	s_and_b32 s82, s82, 0xffffff                               // 00000000E68C: 8652FF52 00FFFFFF
	s_mul_i32 s82, s82, s71                                    // 00000000E694: 92524752
	s_mul_i32 s61, s60, s61                                    // 00000000E698: 923D3D3C
	s_add_u32 s82, s82, s61                                    // 00000000E69C: 80523D52
	v_mul_lo_u32 v7, v4, s82                                   // 00000000E6A0: D2850007 0000A504
	v_add_u32_e32 v61, v6, v7                                  // 00000000E6A8: 687A0F06
	v_readlane_b32 s82, v3, 8                                  // 00000000E6AC: D2890052 00011103
	s_lshr_b32 s61, s82, 24                                    // 00000000E6B4: 8F3D9852
	s_and_b32 s82, s82, 0xffffff                               // 00000000E6B8: 8652FF52 00FFFFFF
	s_mul_i32 s82, s82, s71                                    // 00000000E6C0: 92524752
	s_mul_i32 s61, s60, s61                                    // 00000000E6C4: 923D3D3C
	s_add_u32 s82, s82, s61                                    // 00000000E6C8: 80523D52
	v_mul_lo_u32 v6, v5, s82                                   // 00000000E6CC: D2850006 0000A505
	v_readlane_b32 s82, v3, 9                                  // 00000000E6D4: D2890052 00011303
	s_lshr_b32 s61, s82, 24                                    // 00000000E6DC: 8F3D9852
	s_and_b32 s82, s82, 0xffffff                               // 00000000E6E0: 8652FF52 00FFFFFF
	s_mul_i32 s82, s82, s71                                    // 00000000E6E8: 92524752
	s_mul_i32 s61, s60, s61                                    // 00000000E6EC: 923D3D3C
	s_add_u32 s82, s82, s61                                    // 00000000E6F0: 80523D52
	v_mul_lo_u32 v7, v4, s82                                   // 00000000E6F4: D2850007 0000A504
	v_add_u32_e32 v62, v6, v7                                  // 00000000E6FC: 687C0F06
	v_readlane_b32 s82, v3, 10                                 // 00000000E700: D2890052 00011503
	s_lshr_b32 s61, s82, 24                                    // 00000000E708: 8F3D9852
	s_and_b32 s82, s82, 0xffffff                               // 00000000E70C: 8652FF52 00FFFFFF
	s_mul_i32 s82, s82, s71                                    // 00000000E714: 92524752
	s_mul_i32 s61, s60, s61                                    // 00000000E718: 923D3D3C
	s_add_u32 s82, s82, s61                                    // 00000000E71C: 80523D52
	v_mul_lo_u32 v6, v5, s82                                   // 00000000E720: D2850006 0000A505
	v_readlane_b32 s82, v3, 11                                 // 00000000E728: D2890052 00011703
	s_lshr_b32 s61, s82, 24                                    // 00000000E730: 8F3D9852
	s_and_b32 s82, s82, 0xffffff                               // 00000000E734: 8652FF52 00FFFFFF
	s_mul_i32 s82, s82, s71                                    // 00000000E73C: 92524752
	s_mul_i32 s61, s60, s61                                    // 00000000E740: 923D3D3C
	s_add_u32 s82, s82, s61                                    // 00000000E744: 80523D52
	v_mul_lo_u32 v7, v4, s82                                   // 00000000E748: D2850007 0000A504
	v_add_u32_e32 v63, v6, v7                                  // 00000000E750: 687E0F06
	v_readlane_b32 s82, v3, 12                                 // 00000000E754: D2890052 00011903
	s_lshr_b32 s61, s82, 24                                    // 00000000E75C: 8F3D9852
	s_and_b32 s82, s82, 0xffffff                               // 00000000E760: 8652FF52 00FFFFFF
	s_mul_i32 s82, s82, s71                                    // 00000000E768: 92524752
	s_mul_i32 s61, s60, s61                                    // 00000000E76C: 923D3D3C
	s_add_u32 s82, s82, s61                                    // 00000000E770: 80523D52
	v_mul_lo_u32 v6, v5, s82                                   // 00000000E774: D2850006 0000A505
	v_readlane_b32 s82, v3, 13                                 // 00000000E77C: D2890052 00011B03
	s_lshr_b32 s61, s82, 24                                    // 00000000E784: 8F3D9852
	s_and_b32 s82, s82, 0xffffff                               // 00000000E788: 8652FF52 00FFFFFF
	s_mul_i32 s82, s82, s71                                    // 00000000E790: 92524752
	s_mul_i32 s61, s60, s61                                    // 00000000E794: 923D3D3C
	s_add_u32 s82, s82, s61                                    // 00000000E798: 80523D52
	v_mul_lo_u32 v7, v4, s82                                   // 00000000E79C: D2850007 0000A504
	v_add_u32_e32 v64, v6, v7                                  // 00000000E7A4: 68800F06
	v_readlane_b32 s82, v3, 14                                 // 00000000E7A8: D2890052 00011D03
	s_lshr_b32 s61, s82, 24                                    // 00000000E7B0: 8F3D9852
	s_and_b32 s82, s82, 0xffffff                               // 00000000E7B4: 8652FF52 00FFFFFF
	s_mul_i32 s82, s82, s71                                    // 00000000E7BC: 92524752
	s_mul_i32 s61, s60, s61                                    // 00000000E7C0: 923D3D3C
	s_add_u32 s82, s82, s61                                    // 00000000E7C4: 80523D52
	v_mul_lo_u32 v6, v5, s82                                   // 00000000E7C8: D2850006 0000A505
	v_readlane_b32 s82, v3, 15                                 // 00000000E7D0: D2890052 00011F03
	s_lshr_b32 s61, s82, 24                                    // 00000000E7D8: 8F3D9852
	s_and_b32 s82, s82, 0xffffff                               // 00000000E7DC: 8652FF52 00FFFFFF
	s_mul_i32 s82, s82, s71                                    // 00000000E7E4: 92524752
	s_mul_i32 s61, s60, s61                                    // 00000000E7E8: 923D3D3C
	s_add_u32 s82, s82, s61                                    // 00000000E7EC: 80523D52
	v_mul_lo_u32 v7, v4, s82                                   // 00000000E7F0: D2850007 0000A504
	v_add_u32_e32 v65, v6, v7                                  // 00000000E7F8: 68820F06
	v_readlane_b32 s82, v3, 16                                 // 00000000E7FC: D2890052 00012103
	s_lshr_b32 s61, s82, 24                                    // 00000000E804: 8F3D9852
	s_and_b32 s82, s82, 0xffffff                               // 00000000E808: 8652FF52 00FFFFFF
	s_mul_i32 s82, s82, s71                                    // 00000000E810: 92524752
	s_mul_i32 s61, s60, s61                                    // 00000000E814: 923D3D3C
	s_add_u32 s82, s82, s61                                    // 00000000E818: 80523D52
	v_mul_lo_u32 v6, v5, s82                                   // 00000000E81C: D2850006 0000A505
	v_readlane_b32 s82, v3, 17                                 // 00000000E824: D2890052 00012303
	s_lshr_b32 s61, s82, 24                                    // 00000000E82C: 8F3D9852
	s_and_b32 s82, s82, 0xffffff                               // 00000000E830: 8652FF52 00FFFFFF
	s_mul_i32 s82, s82, s71                                    // 00000000E838: 92524752
	s_mul_i32 s61, s60, s61                                    // 00000000E83C: 923D3D3C
	s_add_u32 s82, s82, s61                                    // 00000000E840: 80523D52
	v_mul_lo_u32 v7, v4, s82                                   // 00000000E844: D2850007 0000A504
	v_add_u32_e32 v66, v6, v7                                  // 00000000E84C: 68840F06
	v_readlane_b32 s82, v3, 18                                 // 00000000E850: D2890052 00012503
	s_lshr_b32 s61, s82, 24                                    // 00000000E858: 8F3D9852
	s_and_b32 s82, s82, 0xffffff                               // 00000000E85C: 8652FF52 00FFFFFF
	s_mul_i32 s82, s82, s71                                    // 00000000E864: 92524752
	s_mul_i32 s61, s60, s61                                    // 00000000E868: 923D3D3C
	s_add_u32 s82, s82, s61                                    // 00000000E86C: 80523D52
	v_mul_lo_u32 v6, v5, s82                                   // 00000000E870: D2850006 0000A505
	v_readlane_b32 s82, v3, 19                                 // 00000000E878: D2890052 00012703
	s_lshr_b32 s61, s82, 24                                    // 00000000E880: 8F3D9852
	s_and_b32 s82, s82, 0xffffff                               // 00000000E884: 8652FF52 00FFFFFF
	s_mul_i32 s82, s82, s71                                    // 00000000E88C: 92524752
	s_mul_i32 s61, s60, s61                                    // 00000000E890: 923D3D3C
	s_add_u32 s82, s82, s61                                    // 00000000E894: 80523D52
	v_mul_lo_u32 v7, v4, s82                                   // 00000000E898: D2850007 0000A504
	v_add_u32_e32 v67, v6, v7                                  // 00000000E8A0: 68860F06
	v_readlane_b32 s82, v3, 20                                 // 00000000E8A4: D2890052 00012903
	s_lshr_b32 s61, s82, 24                                    // 00000000E8AC: 8F3D9852
	s_and_b32 s82, s82, 0xffffff                               // 00000000E8B0: 8652FF52 00FFFFFF
	s_mul_i32 s82, s82, s71                                    // 00000000E8B8: 92524752
	s_mul_i32 s61, s60, s61                                    // 00000000E8BC: 923D3D3C
	s_add_u32 s82, s82, s61                                    // 00000000E8C0: 80523D52
	v_mul_lo_u32 v6, v5, s82                                   // 00000000E8C4: D2850006 0000A505
	v_readlane_b32 s82, v3, 21                                 // 00000000E8CC: D2890052 00012B03
	s_lshr_b32 s61, s82, 24                                    // 00000000E8D4: 8F3D9852
	s_and_b32 s82, s82, 0xffffff                               // 00000000E8D8: 8652FF52 00FFFFFF
	s_mul_i32 s82, s82, s71                                    // 00000000E8E0: 92524752
	s_mul_i32 s61, s60, s61                                    // 00000000E8E4: 923D3D3C
	s_add_u32 s82, s82, s61                                    // 00000000E8E8: 80523D52
	v_mul_lo_u32 v7, v4, s82                                   // 00000000E8EC: D2850007 0000A504
	v_add_u32_e32 v68, v6, v7                                  // 00000000E8F4: 68880F06
	v_readlane_b32 s82, v3, 22                                 // 00000000E8F8: D2890052 00012D03
	s_lshr_b32 s61, s82, 24                                    // 00000000E900: 8F3D9852
	s_and_b32 s82, s82, 0xffffff                               // 00000000E904: 8652FF52 00FFFFFF
	s_mul_i32 s82, s82, s71                                    // 00000000E90C: 92524752
	s_mul_i32 s61, s60, s61                                    // 00000000E910: 923D3D3C
	s_add_u32 s82, s82, s61                                    // 00000000E914: 80523D52
	v_mul_lo_u32 v6, v5, s82                                   // 00000000E918: D2850006 0000A505
	v_readlane_b32 s82, v3, 23                                 // 00000000E920: D2890052 00012F03
	s_lshr_b32 s61, s82, 24                                    // 00000000E928: 8F3D9852
	s_and_b32 s82, s82, 0xffffff                               // 00000000E92C: 8652FF52 00FFFFFF
	s_mul_i32 s82, s82, s71                                    // 00000000E934: 92524752
	s_mul_i32 s61, s60, s61                                    // 00000000E938: 923D3D3C
	s_add_u32 s82, s82, s61                                    // 00000000E93C: 80523D52
	v_mul_lo_u32 v7, v4, s82                                   // 00000000E940: D2850007 0000A504
	v_add_u32_e32 v69, v6, v7                                  // 00000000E948: 688A0F06
	v_readlane_b32 s82, v3, 24                                 // 00000000E94C: D2890052 00013103
	s_lshr_b32 s61, s82, 24                                    // 00000000E954: 8F3D9852
	s_and_b32 s82, s82, 0xffffff                               // 00000000E958: 8652FF52 00FFFFFF
	s_mul_i32 s82, s82, s71                                    // 00000000E960: 92524752
	s_mul_i32 s61, s60, s61                                    // 00000000E964: 923D3D3C
	s_add_u32 s82, s82, s61                                    // 00000000E968: 80523D52
	v_mul_lo_u32 v6, v5, s82                                   // 00000000E96C: D2850006 0000A505
	v_readlane_b32 s82, v3, 25                                 // 00000000E974: D2890052 00013303
	s_lshr_b32 s61, s82, 24                                    // 00000000E97C: 8F3D9852
	s_and_b32 s82, s82, 0xffffff                               // 00000000E980: 8652FF52 00FFFFFF
	s_mul_i32 s82, s82, s71                                    // 00000000E988: 92524752
	s_mul_i32 s61, s60, s61                                    // 00000000E98C: 923D3D3C
	s_add_u32 s82, s82, s61                                    // 00000000E990: 80523D52
	v_mul_lo_u32 v7, v4, s82                                   // 00000000E994: D2850007 0000A504
	v_add_u32_e32 v70, v6, v7                                  // 00000000E99C: 688C0F06
	v_readlane_b32 s82, v3, 26                                 // 00000000E9A0: D2890052 00013503
	s_lshr_b32 s61, s82, 24                                    // 00000000E9A8: 8F3D9852
	s_and_b32 s82, s82, 0xffffff                               // 00000000E9AC: 8652FF52 00FFFFFF
	s_mul_i32 s82, s82, s71                                    // 00000000E9B4: 92524752
	s_mul_i32 s61, s60, s61                                    // 00000000E9B8: 923D3D3C
	s_add_u32 s82, s82, s61                                    // 00000000E9BC: 80523D52
	v_mul_lo_u32 v6, v5, s82                                   // 00000000E9C0: D2850006 0000A505
	v_readlane_b32 s82, v3, 27                                 // 00000000E9C8: D2890052 00013703
	s_lshr_b32 s61, s82, 24                                    // 00000000E9D0: 8F3D9852
	s_and_b32 s82, s82, 0xffffff                               // 00000000E9D4: 8652FF52 00FFFFFF
	s_mul_i32 s82, s82, s71                                    // 00000000E9DC: 92524752
	s_mul_i32 s61, s60, s61                                    // 00000000E9E0: 923D3D3C
	s_add_u32 s82, s82, s61                                    // 00000000E9E4: 80523D52
	v_mul_lo_u32 v7, v4, s82                                   // 00000000E9E8: D2850007 0000A504
	v_add_u32_e32 v71, v6, v7                                  // 00000000E9F0: 688E0F06
	v_and_b32_e32 v4, 31, v0                                   // 00000000E9F4: 2608009F
	v_lshrrev_b32_e32 v4, 1, v4                                // 00000000E9F8: 20080881
	s_cmp_eq_u32 s88, 0                                        // 00000000E9FC: BF068058
	s_cselect_b32 s61, 2, 4                                    // 00000000EA00: 853D8482
	v_mul_lo_u32 v4, v4, s61                                   // 00000000EA04: D2850004 00007B04
	v_and_b32_e64 v5, v0, 1                                    // 00000000EA0C: D1130005 00010300
	v_add_u32_e32 v4, v4, v5                                   // 00000000EA14: 68080B04
	v_lshlrev_b32_e32 v4, 2, v4                                // 00000000EA18: 24080882
	v_add_u32_e32 v58, v58, v4                                 // 00000000EA1C: 6874093A
	v_add_u32_e32 v59, v59, v4                                 // 00000000EA20: 6876093B
	v_add_u32_e32 v60, v60, v4                                 // 00000000EA24: 6878093C
	v_add_u32_e32 v61, v61, v4                                 // 00000000EA28: 687A093D
	v_add_u32_e32 v62, v62, v4                                 // 00000000EA2C: 687C093E
	v_add_u32_e32 v63, v63, v4                                 // 00000000EA30: 687E093F
	v_add_u32_e32 v64, v64, v4                                 // 00000000EA34: 68800940
	v_add_u32_e32 v65, v65, v4                                 // 00000000EA38: 68820941
	v_add_u32_e32 v66, v66, v4                                 // 00000000EA3C: 68840942
	v_add_u32_e32 v67, v67, v4                                 // 00000000EA40: 68860943
	v_add_u32_e32 v68, v68, v4                                 // 00000000EA44: 68880944
	v_add_u32_e32 v69, v69, v4                                 // 00000000EA48: 688A0945
	v_add_u32_e32 v70, v70, v4                                 // 00000000EA4C: 688C0946
	v_add_u32_e32 v71, v71, v4                                 // 00000000EA50: 688E0947
	s_waitcnt lgkmcnt(0)                                       // 00000000EA54: BF8CC07F
	s_barrier                                                  // 00000000EA58: BF8A0000
	ds_read_b32 v76, v21                                       // 00000000EA5C: D86C0000 4C000015
	ds_read_b32 v77, v21 offset:64                             // 00000000EA64: D86C0040 4D000015
	ds_read_b32 v80, v21 offset:2176                           // 00000000EA6C: D86C0880 50000015
	ds_read_b32 v81, v21 offset:2240                           // 00000000EA74: D86C08C0 51000015
	ds_read_b32 v84, v21 offset:4352                           // 00000000EA7C: D86C1100 54000015
	ds_read_b32 v85, v21 offset:4416                           // 00000000EA84: D86C1140 55000015
	ds_read_b32 v88, v21 offset:6528                           // 00000000EA8C: D86C1980 58000015
	ds_read_b32 v89, v21 offset:6592                           // 00000000EA94: D86C19C0 59000015
	ds_read_b32 v92, v21 offset:8704                           // 00000000EA9C: D86C2200 5C000015
	ds_read_b32 v93, v21 offset:8768                           // 00000000EAA4: D86C2240 5D000015
	ds_read_b32 v96, v21 offset:10880                          // 00000000EAAC: D86C2A80 60000015
	ds_read_b32 v97, v21 offset:10944                          // 00000000EAB4: D86C2AC0 61000015
	ds_read_b32 v100, v21 offset:13056                         // 00000000EABC: D86C3300 64000015
	ds_read_b32 v101, v21 offset:13120                         // 00000000EAC4: D86C3340 65000015
	ds_read_b32 v104, v21 offset:15232                         // 00000000EACC: D86C3B80 68000015
	ds_read_b32 v105, v21 offset:15296                         // 00000000EAD4: D86C3BC0 69000015
	ds_read_b32 v108, v21 offset:17408                         // 00000000EADC: D86C4400 6C000015
	ds_read_b32 v109, v21 offset:17472                         // 00000000EAE4: D86C4440 6D000015
	ds_read_b32 v112, v21 offset:19584                         // 00000000EAEC: D86C4C80 70000015
	ds_read_b32 v113, v21 offset:19648                         // 00000000EAF4: D86C4CC0 71000015
	ds_read_b32 v116, v21 offset:21760                         // 00000000EAFC: D86C5500 74000015
	ds_read_b32 v117, v21 offset:21824                         // 00000000EB04: D86C5540 75000015
	ds_read_b32 v120, v21 offset:23936                         // 00000000EB0C: D86C5D80 78000015
	ds_read_b32 v121, v21 offset:24000                         // 00000000EB14: D86C5DC0 79000015
	ds_read_b32 v124, v21 offset:26112                         // 00000000EB1C: D86C6600 7C000015
	ds_read_b32 v125, v21 offset:26176                         // 00000000EB24: D86C6640 7D000015
	ds_read_b32 v128, v21 offset:28288                         // 00000000EB2C: D86C6E80 80000015
	ds_read_b32 v129, v21 offset:28352                         // 00000000EB34: D86C6EC0 81000015
	s_waitcnt lgkmcnt(0)                                       // 00000000EB3C: BF8CC07F
	s_mov_b32 s36, -1                                          // 00000000EB40: BEA400C1
	s_mov_b32 s37, -1                                          // 00000000EB44: BEA500C1
	v_mov_b32_e32 v7, 0                                        // 00000000EB48: 7E0E0280
	s_mov_b64 exec, s[36:37]                                   // 00000000EB4C: BEFE0124
	v_mov_b32_e32 v6, v58                                      // 00000000EB50: 7E0C033A
	s_mov_b64 s[60:61], 0                                      // 00000000EB54: BEBC0180
	v_readlane_b32 s82, v3, 0                                  // 00000000EB58: D2890052 00010103
	s_and_b32 s82, s82, 0xffffff                               // 00000000EB60: 8652FF52 00FFFFFF
	s_cmp_lt_u32 s82, s66                                      // 00000000EB68: BF0A4252
	s_cselect_b32 s20, s36, s60                                // 00000000EB6C: 85143C24
	v_readlane_b32 s82, v3, 1                                  // 00000000EB70: D2890052 00010303
	s_and_b32 s82, s82, 0xffffff                               // 00000000EB78: 8652FF52 00FFFFFF
	s_cmp_lt_u32 s82, s66                                      // 00000000EB80: BF0A4252
	s_cselect_b32 s21, s36, s60                                // 00000000EB84: 85153C24
	s_mov_b64 exec, s[20:21]                                   // 00000000EB88: BEFE0114
	global_atomic_add_f32 v6, v76, s[8:9]                      // 00000000EB8C: DD348000 00084C06
	global_atomic_add_f32 v6, v80, s[8:9] offset:256           // 00000000EB94: DD348100 00085006
	s_mov_b64 exec, s[36:37]                                   // 00000000EB9C: BEFE0124
	v_mov_b32_e32 v6, v59                                      // 00000000EBA0: 7E0C033B
	s_mov_b64 s[60:61], 0                                      // 00000000EBA4: BEBC0180
	v_readlane_b32 s82, v3, 2                                  // 00000000EBA8: D2890052 00010503
	s_and_b32 s82, s82, 0xffffff                               // 00000000EBB0: 8652FF52 00FFFFFF
	s_cmp_lt_u32 s82, s66                                      // 00000000EBB8: BF0A4252
	s_cselect_b32 s20, s36, s60                                // 00000000EBBC: 85143C24
	v_readlane_b32 s82, v3, 3                                  // 00000000EBC0: D2890052 00010703
	s_and_b32 s82, s82, 0xffffff                               // 00000000EBC8: 8652FF52 00FFFFFF
	s_cmp_lt_u32 s82, s66                                      // 00000000EBD0: BF0A4252
	s_cselect_b32 s21, s36, s60                                // 00000000EBD4: 85153C24
	s_mov_b64 exec, s[20:21]                                   // 00000000EBD8: BEFE0114
	global_atomic_add_f32 v6, v77, s[8:9]                      // 00000000EBDC: DD348000 00084D06
	global_atomic_add_f32 v6, v81, s[8:9] offset:256           // 00000000EBE4: DD348100 00085106
	s_mov_b64 exec, s[36:37]                                   // 00000000EBEC: BEFE0124
	v_mov_b32_e32 v6, v60                                      // 00000000EBF0: 7E0C033C
	s_mov_b64 s[60:61], 0                                      // 00000000EBF4: BEBC0180
	v_readlane_b32 s82, v3, 4                                  // 00000000EBF8: D2890052 00010903
	s_and_b32 s82, s82, 0xffffff                               // 00000000EC00: 8652FF52 00FFFFFF
	s_cmp_lt_u32 s82, s66                                      // 00000000EC08: BF0A4252
	s_cselect_b32 s20, s36, s60                                // 00000000EC0C: 85143C24
	v_readlane_b32 s82, v3, 5                                  // 00000000EC10: D2890052 00010B03
	s_and_b32 s82, s82, 0xffffff                               // 00000000EC18: 8652FF52 00FFFFFF
	s_cmp_lt_u32 s82, s66                                      // 00000000EC20: BF0A4252
	s_cselect_b32 s21, s36, s60                                // 00000000EC24: 85153C24
	s_mov_b64 exec, s[20:21]                                   // 00000000EC28: BEFE0114
	global_atomic_add_f32 v6, v84, s[8:9]                      // 00000000EC2C: DD348000 00085406
	global_atomic_add_f32 v6, v88, s[8:9] offset:256           // 00000000EC34: DD348100 00085806
	s_mov_b64 exec, s[36:37]                                   // 00000000EC3C: BEFE0124
	v_mov_b32_e32 v6, v61                                      // 00000000EC40: 7E0C033D
	s_mov_b64 s[60:61], 0                                      // 00000000EC44: BEBC0180
	v_readlane_b32 s82, v3, 6                                  // 00000000EC48: D2890052 00010D03
	s_and_b32 s82, s82, 0xffffff                               // 00000000EC50: 8652FF52 00FFFFFF
	s_cmp_lt_u32 s82, s66                                      // 00000000EC58: BF0A4252
	s_cselect_b32 s20, s36, s60                                // 00000000EC5C: 85143C24
	v_readlane_b32 s82, v3, 7                                  // 00000000EC60: D2890052 00010F03
	s_and_b32 s82, s82, 0xffffff                               // 00000000EC68: 8652FF52 00FFFFFF
	s_cmp_lt_u32 s82, s66                                      // 00000000EC70: BF0A4252
	s_cselect_b32 s21, s36, s60                                // 00000000EC74: 85153C24
	s_mov_b64 exec, s[20:21]                                   // 00000000EC78: BEFE0114
	global_atomic_add_f32 v6, v85, s[8:9]                      // 00000000EC7C: DD348000 00085506
	global_atomic_add_f32 v6, v89, s[8:9] offset:256           // 00000000EC84: DD348100 00085906
	s_mov_b64 exec, s[36:37]                                   // 00000000EC8C: BEFE0124
	v_mov_b32_e32 v6, v62                                      // 00000000EC90: 7E0C033E
	s_mov_b64 s[60:61], 0                                      // 00000000EC94: BEBC0180
	v_readlane_b32 s82, v3, 8                                  // 00000000EC98: D2890052 00011103
	s_and_b32 s82, s82, 0xffffff                               // 00000000ECA0: 8652FF52 00FFFFFF
	s_cmp_lt_u32 s82, s66                                      // 00000000ECA8: BF0A4252
	s_cselect_b32 s20, s36, s60                                // 00000000ECAC: 85143C24
	v_readlane_b32 s82, v3, 9                                  // 00000000ECB0: D2890052 00011303
	s_and_b32 s82, s82, 0xffffff                               // 00000000ECB8: 8652FF52 00FFFFFF
	s_cmp_lt_u32 s82, s66                                      // 00000000ECC0: BF0A4252
	s_cselect_b32 s21, s36, s60                                // 00000000ECC4: 85153C24
	s_mov_b64 exec, s[20:21]                                   // 00000000ECC8: BEFE0114
	global_atomic_add_f32 v6, v92, s[8:9]                      // 00000000ECCC: DD348000 00085C06
	global_atomic_add_f32 v6, v96, s[8:9] offset:256           // 00000000ECD4: DD348100 00086006
	s_mov_b64 exec, s[36:37]                                   // 00000000ECDC: BEFE0124
	v_mov_b32_e32 v6, v63                                      // 00000000ECE0: 7E0C033F
	s_mov_b64 s[60:61], 0                                      // 00000000ECE4: BEBC0180
	v_readlane_b32 s82, v3, 10                                 // 00000000ECE8: D2890052 00011503
	s_and_b32 s82, s82, 0xffffff                               // 00000000ECF0: 8652FF52 00FFFFFF
	s_cmp_lt_u32 s82, s66                                      // 00000000ECF8: BF0A4252
	s_cselect_b32 s20, s36, s60                                // 00000000ECFC: 85143C24
	v_readlane_b32 s82, v3, 11                                 // 00000000ED00: D2890052 00011703
	s_and_b32 s82, s82, 0xffffff                               // 00000000ED08: 8652FF52 00FFFFFF
	s_cmp_lt_u32 s82, s66                                      // 00000000ED10: BF0A4252
	s_cselect_b32 s21, s36, s60                                // 00000000ED14: 85153C24
	s_mov_b64 exec, s[20:21]                                   // 00000000ED18: BEFE0114
	global_atomic_add_f32 v6, v93, s[8:9]                      // 00000000ED1C: DD348000 00085D06
	global_atomic_add_f32 v6, v97, s[8:9] offset:256           // 00000000ED24: DD348100 00086106
	s_mov_b64 exec, s[36:37]                                   // 00000000ED2C: BEFE0124
	v_mov_b32_e32 v6, v64                                      // 00000000ED30: 7E0C0340
	s_mov_b64 s[60:61], 0                                      // 00000000ED34: BEBC0180
	v_readlane_b32 s82, v3, 12                                 // 00000000ED38: D2890052 00011903
	s_and_b32 s82, s82, 0xffffff                               // 00000000ED40: 8652FF52 00FFFFFF
	s_cmp_lt_u32 s82, s66                                      // 00000000ED48: BF0A4252
	s_cselect_b32 s20, s36, s60                                // 00000000ED4C: 85143C24
	v_readlane_b32 s82, v3, 13                                 // 00000000ED50: D2890052 00011B03
	s_and_b32 s82, s82, 0xffffff                               // 00000000ED58: 8652FF52 00FFFFFF
	s_cmp_lt_u32 s82, s66                                      // 00000000ED60: BF0A4252
	s_cselect_b32 s21, s36, s60                                // 00000000ED64: 85153C24
	s_mov_b64 exec, s[20:21]                                   // 00000000ED68: BEFE0114
	global_atomic_add_f32 v6, v100, s[8:9]                     // 00000000ED6C: DD348000 00086406
	global_atomic_add_f32 v6, v104, s[8:9] offset:256          // 00000000ED74: DD348100 00086806
	s_mov_b64 exec, s[36:37]                                   // 00000000ED7C: BEFE0124
	v_mov_b32_e32 v6, v65                                      // 00000000ED80: 7E0C0341
	s_mov_b64 s[60:61], 0                                      // 00000000ED84: BEBC0180
	v_readlane_b32 s82, v3, 14                                 // 00000000ED88: D2890052 00011D03
	s_and_b32 s82, s82, 0xffffff                               // 00000000ED90: 8652FF52 00FFFFFF
	s_cmp_lt_u32 s82, s66                                      // 00000000ED98: BF0A4252
	s_cselect_b32 s20, s36, s60                                // 00000000ED9C: 85143C24
	v_readlane_b32 s82, v3, 15                                 // 00000000EDA0: D2890052 00011F03
	s_and_b32 s82, s82, 0xffffff                               // 00000000EDA8: 8652FF52 00FFFFFF
	s_cmp_lt_u32 s82, s66                                      // 00000000EDB0: BF0A4252
	s_cselect_b32 s21, s36, s60                                // 00000000EDB4: 85153C24
	s_mov_b64 exec, s[20:21]                                   // 00000000EDB8: BEFE0114
	global_atomic_add_f32 v6, v101, s[8:9]                     // 00000000EDBC: DD348000 00086506
	global_atomic_add_f32 v6, v105, s[8:9] offset:256          // 00000000EDC4: DD348100 00086906
	s_mov_b64 exec, s[36:37]                                   // 00000000EDCC: BEFE0124
	v_mov_b32_e32 v6, v66                                      // 00000000EDD0: 7E0C0342
	s_mov_b64 s[60:61], 0                                      // 00000000EDD4: BEBC0180
	v_readlane_b32 s82, v3, 16                                 // 00000000EDD8: D2890052 00012103
	s_and_b32 s82, s82, 0xffffff                               // 00000000EDE0: 8652FF52 00FFFFFF
	s_cmp_lt_u32 s82, s66                                      // 00000000EDE8: BF0A4252
	s_cselect_b32 s20, s36, s60                                // 00000000EDEC: 85143C24
	v_readlane_b32 s82, v3, 17                                 // 00000000EDF0: D2890052 00012303
	s_and_b32 s82, s82, 0xffffff                               // 00000000EDF8: 8652FF52 00FFFFFF
	s_cmp_lt_u32 s82, s66                                      // 00000000EE00: BF0A4252
	s_cselect_b32 s21, s36, s60                                // 00000000EE04: 85153C24
	s_mov_b64 exec, s[20:21]                                   // 00000000EE08: BEFE0114
	global_atomic_add_f32 v6, v108, s[8:9]                     // 00000000EE0C: DD348000 00086C06
	global_atomic_add_f32 v6, v112, s[8:9] offset:256          // 00000000EE14: DD348100 00087006
	s_mov_b64 exec, s[36:37]                                   // 00000000EE1C: BEFE0124
	v_mov_b32_e32 v6, v67                                      // 00000000EE20: 7E0C0343
	s_mov_b64 s[60:61], 0                                      // 00000000EE24: BEBC0180
	v_readlane_b32 s82, v3, 18                                 // 00000000EE28: D2890052 00012503
	s_and_b32 s82, s82, 0xffffff                               // 00000000EE30: 8652FF52 00FFFFFF
	s_cmp_lt_u32 s82, s66                                      // 00000000EE38: BF0A4252
	s_cselect_b32 s20, s36, s60                                // 00000000EE3C: 85143C24
	v_readlane_b32 s82, v3, 19                                 // 00000000EE40: D2890052 00012703
	s_and_b32 s82, s82, 0xffffff                               // 00000000EE48: 8652FF52 00FFFFFF
	s_cmp_lt_u32 s82, s66                                      // 00000000EE50: BF0A4252
	s_cselect_b32 s21, s36, s60                                // 00000000EE54: 85153C24
	s_mov_b64 exec, s[20:21]                                   // 00000000EE58: BEFE0114
	global_atomic_add_f32 v6, v109, s[8:9]                     // 00000000EE5C: DD348000 00086D06
	global_atomic_add_f32 v6, v113, s[8:9] offset:256          // 00000000EE64: DD348100 00087106
	s_mov_b64 exec, s[36:37]                                   // 00000000EE6C: BEFE0124
	v_mov_b32_e32 v6, v68                                      // 00000000EE70: 7E0C0344
	s_mov_b64 s[60:61], 0                                      // 00000000EE74: BEBC0180
	v_readlane_b32 s82, v3, 20                                 // 00000000EE78: D2890052 00012903
	s_and_b32 s82, s82, 0xffffff                               // 00000000EE80: 8652FF52 00FFFFFF
	s_cmp_lt_u32 s82, s66                                      // 00000000EE88: BF0A4252
	s_cselect_b32 s20, s36, s60                                // 00000000EE8C: 85143C24
	v_readlane_b32 s82, v3, 21                                 // 00000000EE90: D2890052 00012B03
	s_and_b32 s82, s82, 0xffffff                               // 00000000EE98: 8652FF52 00FFFFFF
	s_cmp_lt_u32 s82, s66                                      // 00000000EEA0: BF0A4252
	s_cselect_b32 s21, s36, s60                                // 00000000EEA4: 85153C24
	s_mov_b64 exec, s[20:21]                                   // 00000000EEA8: BEFE0114
	global_atomic_add_f32 v6, v116, s[8:9]                     // 00000000EEAC: DD348000 00087406
	global_atomic_add_f32 v6, v120, s[8:9] offset:256          // 00000000EEB4: DD348100 00087806
	s_mov_b64 exec, s[36:37]                                   // 00000000EEBC: BEFE0124
	v_mov_b32_e32 v6, v69                                      // 00000000EEC0: 7E0C0345
	s_mov_b64 s[60:61], 0                                      // 00000000EEC4: BEBC0180
	v_readlane_b32 s82, v3, 22                                 // 00000000EEC8: D2890052 00012D03
	s_and_b32 s82, s82, 0xffffff                               // 00000000EED0: 8652FF52 00FFFFFF
	s_cmp_lt_u32 s82, s66                                      // 00000000EED8: BF0A4252
	s_cselect_b32 s20, s36, s60                                // 00000000EEDC: 85143C24
	v_readlane_b32 s82, v3, 23                                 // 00000000EEE0: D2890052 00012F03
	s_and_b32 s82, s82, 0xffffff                               // 00000000EEE8: 8652FF52 00FFFFFF
	s_cmp_lt_u32 s82, s66                                      // 00000000EEF0: BF0A4252
	s_cselect_b32 s21, s36, s60                                // 00000000EEF4: 85153C24
	s_mov_b64 exec, s[20:21]                                   // 00000000EEF8: BEFE0114
	global_atomic_add_f32 v6, v117, s[8:9]                     // 00000000EEFC: DD348000 00087506
	global_atomic_add_f32 v6, v121, s[8:9] offset:256          // 00000000EF04: DD348100 00087906
	s_mov_b64 exec, s[36:37]                                   // 00000000EF0C: BEFE0124
	v_mov_b32_e32 v6, v70                                      // 00000000EF10: 7E0C0346
	s_mov_b64 s[60:61], 0                                      // 00000000EF14: BEBC0180
	v_readlane_b32 s82, v3, 24                                 // 00000000EF18: D2890052 00013103
	s_and_b32 s82, s82, 0xffffff                               // 00000000EF20: 8652FF52 00FFFFFF
	s_cmp_lt_u32 s82, s66                                      // 00000000EF28: BF0A4252
	s_cselect_b32 s20, s36, s60                                // 00000000EF2C: 85143C24
	v_readlane_b32 s82, v3, 25                                 // 00000000EF30: D2890052 00013303
	s_and_b32 s82, s82, 0xffffff                               // 00000000EF38: 8652FF52 00FFFFFF
	s_cmp_lt_u32 s82, s66                                      // 00000000EF40: BF0A4252
	s_cselect_b32 s21, s36, s60                                // 00000000EF44: 85153C24
	s_mov_b64 exec, s[20:21]                                   // 00000000EF48: BEFE0114
	global_atomic_add_f32 v6, v124, s[8:9]                     // 00000000EF4C: DD348000 00087C06
	global_atomic_add_f32 v6, v128, s[8:9] offset:256          // 00000000EF54: DD348100 00088006
	s_mov_b64 exec, s[36:37]                                   // 00000000EF5C: BEFE0124
	v_mov_b32_e32 v6, v71                                      // 00000000EF60: 7E0C0347
	s_mov_b64 s[60:61], 0                                      // 00000000EF64: BEBC0180
	v_readlane_b32 s82, v3, 26                                 // 00000000EF68: D2890052 00013503
	s_and_b32 s82, s82, 0xffffff                               // 00000000EF70: 8652FF52 00FFFFFF
	s_cmp_lt_u32 s82, s66                                      // 00000000EF78: BF0A4252
	s_cselect_b32 s20, s36, s60                                // 00000000EF7C: 85143C24
	v_readlane_b32 s82, v3, 27                                 // 00000000EF80: D2890052 00013703
	s_and_b32 s82, s82, 0xffffff                               // 00000000EF88: 8652FF52 00FFFFFF
	s_cmp_lt_u32 s82, s66                                      // 00000000EF90: BF0A4252
	s_cselect_b32 s21, s36, s60                                // 00000000EF94: 85153C24
	s_mov_b64 exec, s[20:21]                                   // 00000000EF98: BEFE0114
	global_atomic_add_f32 v6, v125, s[8:9]                     // 00000000EF9C: DD348000 00087D06
	global_atomic_add_f32 v6, v129, s[8:9] offset:256          // 00000000EFA4: DD348100 00088106
	s_mov_b64 exec, s[36:37]                                   // 00000000EFAC: BEFE0124
	ds_write_b64 v20, v[78:79]                                 // 00000000EFB0: D89A0000 00004E14
	ds_write_b64 v20, v[82:83] offset:4352                     // 00000000EFB8: D89A1100 00005214
	ds_write_b64 v20, v[86:87] offset:8704                     // 00000000EFC0: D89A2200 00005614
	ds_write_b64 v20, v[90:91] offset:13056                    // 00000000EFC8: D89A3300 00005A14
	ds_write_b64 v20, v[94:95] offset:17408                    // 00000000EFD0: D89A4400 00005E14
	ds_write_b64 v20, v[98:99] offset:21760                    // 00000000EFD8: D89A5500 00006214
	ds_write_b64 v20, v[102:103] offset:26112                  // 00000000EFE0: D89A6600 00006614
	ds_write_b64 v20, v[106:107] offset:2176                   // 00000000EFE8: D89A0880 00006A14
	ds_write_b64 v20, v[110:111] offset:6528                   // 00000000EFF0: D89A1980 00006E14
	ds_write_b64 v20, v[114:115] offset:10880                  // 00000000EFF8: D89A2A80 00007214
	ds_write_b64 v20, v[118:119] offset:15232                  // 00000000F000: D89A3B80 00007614
	ds_write_b64 v20, v[122:123] offset:19584                  // 00000000F008: D89A4C80 00007A14
	ds_write_b64 v20, v[126:127] offset:23936                  // 00000000F010: D89A5D80 00007E14
	ds_write_b64 v20, v[130:131] offset:28288                  // 00000000F018: D89A6E80 00008214
	s_waitcnt lgkmcnt(0)                                       // 00000000F020: BF8CC07F
	s_barrier                                                  // 00000000F024: BF8A0000
	ds_read_b32 v78, v21                                       // 00000000F028: D86C0000 4E000015
	ds_read_b32 v79, v21 offset:64                             // 00000000F030: D86C0040 4F000015
	ds_read_b32 v82, v21 offset:2176                           // 00000000F038: D86C0880 52000015
	ds_read_b32 v83, v21 offset:2240                           // 00000000F040: D86C08C0 53000015
	ds_read_b32 v86, v21 offset:4352                           // 00000000F048: D86C1100 56000015
	ds_read_b32 v87, v21 offset:4416                           // 00000000F050: D86C1140 57000015
	ds_read_b32 v90, v21 offset:6528                           // 00000000F058: D86C1980 5A000015
	ds_read_b32 v91, v21 offset:6592                           // 00000000F060: D86C19C0 5B000015
	ds_read_b32 v94, v21 offset:8704                           // 00000000F068: D86C2200 5E000015
	ds_read_b32 v95, v21 offset:8768                           // 00000000F070: D86C2240 5F000015
	ds_read_b32 v98, v21 offset:10880                          // 00000000F078: D86C2A80 62000015
	ds_read_b32 v99, v21 offset:10944                          // 00000000F080: D86C2AC0 63000015
	ds_read_b32 v102, v21 offset:13056                         // 00000000F088: D86C3300 66000015
	ds_read_b32 v103, v21 offset:13120                         // 00000000F090: D86C3340 67000015
	ds_read_b32 v106, v21 offset:15232                         // 00000000F098: D86C3B80 6A000015
	ds_read_b32 v107, v21 offset:15296                         // 00000000F0A0: D86C3BC0 6B000015
	ds_read_b32 v110, v21 offset:17408                         // 00000000F0A8: D86C4400 6E000015
	ds_read_b32 v111, v21 offset:17472                         // 00000000F0B0: D86C4440 6F000015
	ds_read_b32 v114, v21 offset:19584                         // 00000000F0B8: D86C4C80 72000015
	ds_read_b32 v115, v21 offset:19648                         // 00000000F0C0: D86C4CC0 73000015
	ds_read_b32 v118, v21 offset:21760                         // 00000000F0C8: D86C5500 76000015
	ds_read_b32 v119, v21 offset:21824                         // 00000000F0D0: D86C5540 77000015
	ds_read_b32 v122, v21 offset:23936                         // 00000000F0D8: D86C5D80 7A000015
	ds_read_b32 v123, v21 offset:24000                         // 00000000F0E0: D86C5DC0 7B000015
	ds_read_b32 v126, v21 offset:26112                         // 00000000F0E8: D86C6600 7E000015
	ds_read_b32 v127, v21 offset:26176                         // 00000000F0F0: D86C6640 7F000015
	ds_read_b32 v130, v21 offset:28288                         // 00000000F0F8: D86C6E80 82000015
	ds_read_b32 v131, v21 offset:28352                         // 00000000F100: D86C6EC0 83000015
	s_waitcnt lgkmcnt(0)                                       // 00000000F108: BF8CC07F
	v_mov_b32_e32 v7, 0                                        // 00000000F10C: 7E0E0280
	s_mov_b64 exec, s[36:37]                                   // 00000000F110: BEFE0124
	v_mov_b32_e32 v6, v58                                      // 00000000F114: 7E0C033A
	s_mov_b64 s[60:61], 0                                      // 00000000F118: BEBC0180
	v_readlane_b32 s82, v3, 0                                  // 00000000F11C: D2890052 00010103
	s_and_b32 s82, s82, 0xffffff                               // 00000000F124: 8652FF52 00FFFFFF
	s_cmp_lt_u32 s82, s66                                      // 00000000F12C: BF0A4252
	s_cselect_b32 s20, s36, s60                                // 00000000F130: 85143C24
	v_readlane_b32 s82, v3, 1                                  // 00000000F134: D2890052 00010303
	s_and_b32 s82, s82, 0xffffff                               // 00000000F13C: 8652FF52 00FFFFFF
	s_cmp_lt_u32 s82, s66                                      // 00000000F144: BF0A4252
	s_cselect_b32 s21, s36, s60                                // 00000000F148: 85153C24
	s_mov_b64 exec, s[20:21]                                   // 00000000F14C: BEFE0114
	global_atomic_add_f32 v6, v78, s[8:9] offset:8             // 00000000F150: DD348008 00084E06
	global_atomic_add_f32 v6, v82, s[8:9] offset:264           // 00000000F158: DD348108 00085206
	s_mov_b64 exec, s[36:37]                                   // 00000000F160: BEFE0124
	v_mov_b32_e32 v6, v59                                      // 00000000F164: 7E0C033B
	s_mov_b64 s[60:61], 0                                      // 00000000F168: BEBC0180
	v_readlane_b32 s82, v3, 2                                  // 00000000F16C: D2890052 00010503
	s_and_b32 s82, s82, 0xffffff                               // 00000000F174: 8652FF52 00FFFFFF
	s_cmp_lt_u32 s82, s66                                      // 00000000F17C: BF0A4252
	s_cselect_b32 s20, s36, s60                                // 00000000F180: 85143C24
	v_readlane_b32 s82, v3, 3                                  // 00000000F184: D2890052 00010703
	s_and_b32 s82, s82, 0xffffff                               // 00000000F18C: 8652FF52 00FFFFFF
	s_cmp_lt_u32 s82, s66                                      // 00000000F194: BF0A4252
	s_cselect_b32 s21, s36, s60                                // 00000000F198: 85153C24
	s_mov_b64 exec, s[20:21]                                   // 00000000F19C: BEFE0114
	global_atomic_add_f32 v6, v79, s[8:9] offset:8             // 00000000F1A0: DD348008 00084F06
	global_atomic_add_f32 v6, v83, s[8:9] offset:264           // 00000000F1A8: DD348108 00085306
	s_mov_b64 exec, s[36:37]                                   // 00000000F1B0: BEFE0124
	v_mov_b32_e32 v6, v60                                      // 00000000F1B4: 7E0C033C
	s_mov_b64 s[60:61], 0                                      // 00000000F1B8: BEBC0180
	v_readlane_b32 s82, v3, 4                                  // 00000000F1BC: D2890052 00010903
	s_and_b32 s82, s82, 0xffffff                               // 00000000F1C4: 8652FF52 00FFFFFF
	s_cmp_lt_u32 s82, s66                                      // 00000000F1CC: BF0A4252
	s_cselect_b32 s20, s36, s60                                // 00000000F1D0: 85143C24
	v_readlane_b32 s82, v3, 5                                  // 00000000F1D4: D2890052 00010B03
	s_and_b32 s82, s82, 0xffffff                               // 00000000F1DC: 8652FF52 00FFFFFF
	s_cmp_lt_u32 s82, s66                                      // 00000000F1E4: BF0A4252
	s_cselect_b32 s21, s36, s60                                // 00000000F1E8: 85153C24
	s_mov_b64 exec, s[20:21]                                   // 00000000F1EC: BEFE0114
	global_atomic_add_f32 v6, v86, s[8:9] offset:8             // 00000000F1F0: DD348008 00085606
	global_atomic_add_f32 v6, v90, s[8:9] offset:264           // 00000000F1F8: DD348108 00085A06
	s_mov_b64 exec, s[36:37]                                   // 00000000F200: BEFE0124
	v_mov_b32_e32 v6, v61                                      // 00000000F204: 7E0C033D
	s_mov_b64 s[60:61], 0                                      // 00000000F208: BEBC0180
	v_readlane_b32 s82, v3, 6                                  // 00000000F20C: D2890052 00010D03
	s_and_b32 s82, s82, 0xffffff                               // 00000000F214: 8652FF52 00FFFFFF
	s_cmp_lt_u32 s82, s66                                      // 00000000F21C: BF0A4252
	s_cselect_b32 s20, s36, s60                                // 00000000F220: 85143C24
	v_readlane_b32 s82, v3, 7                                  // 00000000F224: D2890052 00010F03
	s_and_b32 s82, s82, 0xffffff                               // 00000000F22C: 8652FF52 00FFFFFF
	s_cmp_lt_u32 s82, s66                                      // 00000000F234: BF0A4252
	s_cselect_b32 s21, s36, s60                                // 00000000F238: 85153C24
	s_mov_b64 exec, s[20:21]                                   // 00000000F23C: BEFE0114
	global_atomic_add_f32 v6, v87, s[8:9] offset:8             // 00000000F240: DD348008 00085706
	global_atomic_add_f32 v6, v91, s[8:9] offset:264           // 00000000F248: DD348108 00085B06
	s_mov_b64 exec, s[36:37]                                   // 00000000F250: BEFE0124
	v_mov_b32_e32 v6, v62                                      // 00000000F254: 7E0C033E
	s_mov_b64 s[60:61], 0                                      // 00000000F258: BEBC0180
	v_readlane_b32 s82, v3, 8                                  // 00000000F25C: D2890052 00011103
	s_and_b32 s82, s82, 0xffffff                               // 00000000F264: 8652FF52 00FFFFFF
	s_cmp_lt_u32 s82, s66                                      // 00000000F26C: BF0A4252
	s_cselect_b32 s20, s36, s60                                // 00000000F270: 85143C24
	v_readlane_b32 s82, v3, 9                                  // 00000000F274: D2890052 00011303
	s_and_b32 s82, s82, 0xffffff                               // 00000000F27C: 8652FF52 00FFFFFF
	s_cmp_lt_u32 s82, s66                                      // 00000000F284: BF0A4252
	s_cselect_b32 s21, s36, s60                                // 00000000F288: 85153C24
	s_mov_b64 exec, s[20:21]                                   // 00000000F28C: BEFE0114
	global_atomic_add_f32 v6, v94, s[8:9] offset:8             // 00000000F290: DD348008 00085E06
	global_atomic_add_f32 v6, v98, s[8:9] offset:264           // 00000000F298: DD348108 00086206
	s_mov_b64 exec, s[36:37]                                   // 00000000F2A0: BEFE0124
	v_mov_b32_e32 v6, v63                                      // 00000000F2A4: 7E0C033F
	s_mov_b64 s[60:61], 0                                      // 00000000F2A8: BEBC0180
	v_readlane_b32 s82, v3, 10                                 // 00000000F2AC: D2890052 00011503
	s_and_b32 s82, s82, 0xffffff                               // 00000000F2B4: 8652FF52 00FFFFFF
	s_cmp_lt_u32 s82, s66                                      // 00000000F2BC: BF0A4252
	s_cselect_b32 s20, s36, s60                                // 00000000F2C0: 85143C24
	v_readlane_b32 s82, v3, 11                                 // 00000000F2C4: D2890052 00011703
	s_and_b32 s82, s82, 0xffffff                               // 00000000F2CC: 8652FF52 00FFFFFF
	s_cmp_lt_u32 s82, s66                                      // 00000000F2D4: BF0A4252
	s_cselect_b32 s21, s36, s60                                // 00000000F2D8: 85153C24
	s_mov_b64 exec, s[20:21]                                   // 00000000F2DC: BEFE0114
	global_atomic_add_f32 v6, v95, s[8:9] offset:8             // 00000000F2E0: DD348008 00085F06
	global_atomic_add_f32 v6, v99, s[8:9] offset:264           // 00000000F2E8: DD348108 00086306
	s_mov_b64 exec, s[36:37]                                   // 00000000F2F0: BEFE0124
	v_mov_b32_e32 v6, v64                                      // 00000000F2F4: 7E0C0340
	s_mov_b64 s[60:61], 0                                      // 00000000F2F8: BEBC0180
	v_readlane_b32 s82, v3, 12                                 // 00000000F2FC: D2890052 00011903
	s_and_b32 s82, s82, 0xffffff                               // 00000000F304: 8652FF52 00FFFFFF
	s_cmp_lt_u32 s82, s66                                      // 00000000F30C: BF0A4252
	s_cselect_b32 s20, s36, s60                                // 00000000F310: 85143C24
	v_readlane_b32 s82, v3, 13                                 // 00000000F314: D2890052 00011B03
	s_and_b32 s82, s82, 0xffffff                               // 00000000F31C: 8652FF52 00FFFFFF
	s_cmp_lt_u32 s82, s66                                      // 00000000F324: BF0A4252
	s_cselect_b32 s21, s36, s60                                // 00000000F328: 85153C24
	s_mov_b64 exec, s[20:21]                                   // 00000000F32C: BEFE0114
	global_atomic_add_f32 v6, v102, s[8:9] offset:8            // 00000000F330: DD348008 00086606
	global_atomic_add_f32 v6, v106, s[8:9] offset:264          // 00000000F338: DD348108 00086A06
	s_mov_b64 exec, s[36:37]                                   // 00000000F340: BEFE0124
	v_mov_b32_e32 v6, v65                                      // 00000000F344: 7E0C0341
	s_mov_b64 s[60:61], 0                                      // 00000000F348: BEBC0180
	v_readlane_b32 s82, v3, 14                                 // 00000000F34C: D2890052 00011D03
	s_and_b32 s82, s82, 0xffffff                               // 00000000F354: 8652FF52 00FFFFFF
	s_cmp_lt_u32 s82, s66                                      // 00000000F35C: BF0A4252
	s_cselect_b32 s20, s36, s60                                // 00000000F360: 85143C24
	v_readlane_b32 s82, v3, 15                                 // 00000000F364: D2890052 00011F03
	s_and_b32 s82, s82, 0xffffff                               // 00000000F36C: 8652FF52 00FFFFFF
	s_cmp_lt_u32 s82, s66                                      // 00000000F374: BF0A4252
	s_cselect_b32 s21, s36, s60                                // 00000000F378: 85153C24
	s_mov_b64 exec, s[20:21]                                   // 00000000F37C: BEFE0114
	global_atomic_add_f32 v6, v103, s[8:9] offset:8            // 00000000F380: DD348008 00086706
	global_atomic_add_f32 v6, v107, s[8:9] offset:264          // 00000000F388: DD348108 00086B06
	s_mov_b64 exec, s[36:37]                                   // 00000000F390: BEFE0124
	v_mov_b32_e32 v6, v66                                      // 00000000F394: 7E0C0342
	s_mov_b64 s[60:61], 0                                      // 00000000F398: BEBC0180
	v_readlane_b32 s82, v3, 16                                 // 00000000F39C: D2890052 00012103
	s_and_b32 s82, s82, 0xffffff                               // 00000000F3A4: 8652FF52 00FFFFFF
	s_cmp_lt_u32 s82, s66                                      // 00000000F3AC: BF0A4252
	s_cselect_b32 s20, s36, s60                                // 00000000F3B0: 85143C24
	v_readlane_b32 s82, v3, 17                                 // 00000000F3B4: D2890052 00012303
	s_and_b32 s82, s82, 0xffffff                               // 00000000F3BC: 8652FF52 00FFFFFF
	s_cmp_lt_u32 s82, s66                                      // 00000000F3C4: BF0A4252
	s_cselect_b32 s21, s36, s60                                // 00000000F3C8: 85153C24
	s_mov_b64 exec, s[20:21]                                   // 00000000F3CC: BEFE0114
	global_atomic_add_f32 v6, v110, s[8:9] offset:8            // 00000000F3D0: DD348008 00086E06
	global_atomic_add_f32 v6, v114, s[8:9] offset:264          // 00000000F3D8: DD348108 00087206
	s_mov_b64 exec, s[36:37]                                   // 00000000F3E0: BEFE0124
	v_mov_b32_e32 v6, v67                                      // 00000000F3E4: 7E0C0343
	s_mov_b64 s[60:61], 0                                      // 00000000F3E8: BEBC0180
	v_readlane_b32 s82, v3, 18                                 // 00000000F3EC: D2890052 00012503
	s_and_b32 s82, s82, 0xffffff                               // 00000000F3F4: 8652FF52 00FFFFFF
	s_cmp_lt_u32 s82, s66                                      // 00000000F3FC: BF0A4252
	s_cselect_b32 s20, s36, s60                                // 00000000F400: 85143C24
	v_readlane_b32 s82, v3, 19                                 // 00000000F404: D2890052 00012703
	s_and_b32 s82, s82, 0xffffff                               // 00000000F40C: 8652FF52 00FFFFFF
	s_cmp_lt_u32 s82, s66                                      // 00000000F414: BF0A4252
	s_cselect_b32 s21, s36, s60                                // 00000000F418: 85153C24
	s_mov_b64 exec, s[20:21]                                   // 00000000F41C: BEFE0114
	global_atomic_add_f32 v6, v111, s[8:9] offset:8            // 00000000F420: DD348008 00086F06
	global_atomic_add_f32 v6, v115, s[8:9] offset:264          // 00000000F428: DD348108 00087306
	s_mov_b64 exec, s[36:37]                                   // 00000000F430: BEFE0124
	v_mov_b32_e32 v6, v68                                      // 00000000F434: 7E0C0344
	s_mov_b64 s[60:61], 0                                      // 00000000F438: BEBC0180
	v_readlane_b32 s82, v3, 20                                 // 00000000F43C: D2890052 00012903
	s_and_b32 s82, s82, 0xffffff                               // 00000000F444: 8652FF52 00FFFFFF
	s_cmp_lt_u32 s82, s66                                      // 00000000F44C: BF0A4252
	s_cselect_b32 s20, s36, s60                                // 00000000F450: 85143C24
	v_readlane_b32 s82, v3, 21                                 // 00000000F454: D2890052 00012B03
	s_and_b32 s82, s82, 0xffffff                               // 00000000F45C: 8652FF52 00FFFFFF
	s_cmp_lt_u32 s82, s66                                      // 00000000F464: BF0A4252
	s_cselect_b32 s21, s36, s60                                // 00000000F468: 85153C24
	s_mov_b64 exec, s[20:21]                                   // 00000000F46C: BEFE0114
	global_atomic_add_f32 v6, v118, s[8:9] offset:8            // 00000000F470: DD348008 00087606
	global_atomic_add_f32 v6, v122, s[8:9] offset:264          // 00000000F478: DD348108 00087A06
	s_mov_b64 exec, s[36:37]                                   // 00000000F480: BEFE0124
	v_mov_b32_e32 v6, v69                                      // 00000000F484: 7E0C0345
	s_mov_b64 s[60:61], 0                                      // 00000000F488: BEBC0180
	v_readlane_b32 s82, v3, 22                                 // 00000000F48C: D2890052 00012D03
	s_and_b32 s82, s82, 0xffffff                               // 00000000F494: 8652FF52 00FFFFFF
	s_cmp_lt_u32 s82, s66                                      // 00000000F49C: BF0A4252
	s_cselect_b32 s20, s36, s60                                // 00000000F4A0: 85143C24
	v_readlane_b32 s82, v3, 23                                 // 00000000F4A4: D2890052 00012F03
	s_and_b32 s82, s82, 0xffffff                               // 00000000F4AC: 8652FF52 00FFFFFF
	s_cmp_lt_u32 s82, s66                                      // 00000000F4B4: BF0A4252
	s_cselect_b32 s21, s36, s60                                // 00000000F4B8: 85153C24
	s_mov_b64 exec, s[20:21]                                   // 00000000F4BC: BEFE0114
	global_atomic_add_f32 v6, v119, s[8:9] offset:8            // 00000000F4C0: DD348008 00087706
	global_atomic_add_f32 v6, v123, s[8:9] offset:264          // 00000000F4C8: DD348108 00087B06
	s_mov_b64 exec, s[36:37]                                   // 00000000F4D0: BEFE0124
	v_mov_b32_e32 v6, v70                                      // 00000000F4D4: 7E0C0346
	s_mov_b64 s[60:61], 0                                      // 00000000F4D8: BEBC0180
	v_readlane_b32 s82, v3, 24                                 // 00000000F4DC: D2890052 00013103
	s_and_b32 s82, s82, 0xffffff                               // 00000000F4E4: 8652FF52 00FFFFFF
	s_cmp_lt_u32 s82, s66                                      // 00000000F4EC: BF0A4252
	s_cselect_b32 s20, s36, s60                                // 00000000F4F0: 85143C24
	v_readlane_b32 s82, v3, 25                                 // 00000000F4F4: D2890052 00013303
	s_and_b32 s82, s82, 0xffffff                               // 00000000F4FC: 8652FF52 00FFFFFF
	s_cmp_lt_u32 s82, s66                                      // 00000000F504: BF0A4252
	s_cselect_b32 s21, s36, s60                                // 00000000F508: 85153C24
	s_mov_b64 exec, s[20:21]                                   // 00000000F50C: BEFE0114
	global_atomic_add_f32 v6, v126, s[8:9] offset:8            // 00000000F510: DD348008 00087E06
	global_atomic_add_f32 v6, v130, s[8:9] offset:264          // 00000000F518: DD348108 00088206
	s_mov_b64 exec, s[36:37]                                   // 00000000F520: BEFE0124
	v_mov_b32_e32 v6, v71                                      // 00000000F524: 7E0C0347
	s_mov_b64 s[60:61], 0                                      // 00000000F528: BEBC0180
	v_readlane_b32 s82, v3, 26                                 // 00000000F52C: D2890052 00013503
	s_and_b32 s82, s82, 0xffffff                               // 00000000F534: 8652FF52 00FFFFFF
	s_cmp_lt_u32 s82, s66                                      // 00000000F53C: BF0A4252
	s_cselect_b32 s20, s36, s60                                // 00000000F540: 85143C24
	v_readlane_b32 s82, v3, 27                                 // 00000000F544: D2890052 00013703
	s_and_b32 s82, s82, 0xffffff                               // 00000000F54C: 8652FF52 00FFFFFF
	s_cmp_lt_u32 s82, s66                                      // 00000000F554: BF0A4252
	s_cselect_b32 s21, s36, s60                                // 00000000F558: 85153C24
	s_mov_b64 exec, s[20:21]                                   // 00000000F55C: BEFE0114
	global_atomic_add_f32 v6, v127, s[8:9] offset:8            // 00000000F560: DD348008 00087F06
	global_atomic_add_f32 v6, v131, s[8:9] offset:264          // 00000000F568: DD348108 00088306
	s_mov_b64 exec, s[36:37]                                   // 00000000F570: BEFE0124
	ds_write_b64 v20, v[132:133]                               // 00000000F574: D89A0000 00008414
	ds_write_b64 v20, v[136:137] offset:4352                   // 00000000F57C: D89A1100 00008814
	ds_write_b64 v20, v[140:141] offset:8704                   // 00000000F584: D89A2200 00008C14
	ds_write_b64 v20, v[144:145] offset:13056                  // 00000000F58C: D89A3300 00009014
	ds_write_b64 v20, v[148:149] offset:17408                  // 00000000F594: D89A4400 00009414
	ds_write_b64 v20, v[152:153] offset:21760                  // 00000000F59C: D89A5500 00009814
	ds_write_b64 v20, v[156:157] offset:26112                  // 00000000F5A4: D89A6600 00009C14
	ds_write_b64 v20, v[160:161] offset:2176                   // 00000000F5AC: D89A0880 0000A014
	ds_write_b64 v20, v[164:165] offset:6528                   // 00000000F5B4: D89A1980 0000A414
	ds_write_b64 v20, v[168:169] offset:10880                  // 00000000F5BC: D89A2A80 0000A814
	ds_write_b64 v20, v[172:173] offset:15232                  // 00000000F5C4: D89A3B80 0000AC14
	ds_write_b64 v20, v[176:177] offset:19584                  // 00000000F5CC: D89A4C80 0000B014
	ds_write_b64 v20, v[180:181] offset:23936                  // 00000000F5D4: D89A5D80 0000B414
	ds_write_b64 v20, v[184:185] offset:28288                  // 00000000F5DC: D89A6E80 0000B814
	s_waitcnt lgkmcnt(0)                                       // 00000000F5E4: BF8CC07F
	s_barrier                                                  // 00000000F5E8: BF8A0000
	ds_read_b32 v132, v21                                      // 00000000F5EC: D86C0000 84000015
	ds_read_b32 v133, v21 offset:64                            // 00000000F5F4: D86C0040 85000015
	ds_read_b32 v136, v21 offset:2176                          // 00000000F5FC: D86C0880 88000015
	ds_read_b32 v137, v21 offset:2240                          // 00000000F604: D86C08C0 89000015
	ds_read_b32 v140, v21 offset:4352                          // 00000000F60C: D86C1100 8C000015
	ds_read_b32 v141, v21 offset:4416                          // 00000000F614: D86C1140 8D000015
	ds_read_b32 v144, v21 offset:6528                          // 00000000F61C: D86C1980 90000015
	ds_read_b32 v145, v21 offset:6592                          // 00000000F624: D86C19C0 91000015
	ds_read_b32 v148, v21 offset:8704                          // 00000000F62C: D86C2200 94000015
	ds_read_b32 v149, v21 offset:8768                          // 00000000F634: D86C2240 95000015
	ds_read_b32 v152, v21 offset:10880                         // 00000000F63C: D86C2A80 98000015
	ds_read_b32 v153, v21 offset:10944                         // 00000000F644: D86C2AC0 99000015
	ds_read_b32 v156, v21 offset:13056                         // 00000000F64C: D86C3300 9C000015
	ds_read_b32 v157, v21 offset:13120                         // 00000000F654: D86C3340 9D000015
	ds_read_b32 v160, v21 offset:15232                         // 00000000F65C: D86C3B80 A0000015
	ds_read_b32 v161, v21 offset:15296                         // 00000000F664: D86C3BC0 A1000015
	ds_read_b32 v164, v21 offset:17408                         // 00000000F66C: D86C4400 A4000015
	ds_read_b32 v165, v21 offset:17472                         // 00000000F674: D86C4440 A5000015
	ds_read_b32 v168, v21 offset:19584                         // 00000000F67C: D86C4C80 A8000015
	ds_read_b32 v169, v21 offset:19648                         // 00000000F684: D86C4CC0 A9000015
	ds_read_b32 v172, v21 offset:21760                         // 00000000F68C: D86C5500 AC000015
	ds_read_b32 v173, v21 offset:21824                         // 00000000F694: D86C5540 AD000015
	ds_read_b32 v176, v21 offset:23936                         // 00000000F69C: D86C5D80 B0000015
	ds_read_b32 v177, v21 offset:24000                         // 00000000F6A4: D86C5DC0 B1000015
	ds_read_b32 v180, v21 offset:26112                         // 00000000F6AC: D86C6600 B4000015
	ds_read_b32 v181, v21 offset:26176                         // 00000000F6B4: D86C6640 B5000015
	ds_read_b32 v184, v21 offset:28288                         // 00000000F6BC: D86C6E80 B8000015
	ds_read_b32 v185, v21 offset:28352                         // 00000000F6C4: D86C6EC0 B9000015
	s_mul_i32 s60, s65, 4                                      // 00000000F6CC: 923C8441
	s_add_u32 s8, s60, s8                                      // 00000000F6D0: 8008083C
	s_addc_u32 s9, 0, s9                                       // 00000000F6D4: 82090980
	s_waitcnt lgkmcnt(0)                                       // 00000000F6D8: BF8CC07F
	v_mov_b32_e32 v7, 0                                        // 00000000F6DC: 7E0E0280
	s_mov_b64 exec, s[36:37]                                   // 00000000F6E0: BEFE0124
	v_mov_b32_e32 v6, v58                                      // 00000000F6E4: 7E0C033A
	s_mov_b64 s[60:61], 0                                      // 00000000F6E8: BEBC0180
	v_readlane_b32 s82, v3, 0                                  // 00000000F6EC: D2890052 00010103
	s_and_b32 s82, s82, 0xffffff                               // 00000000F6F4: 8652FF52 00FFFFFF
	s_cmp_lt_u32 s82, s66                                      // 00000000F6FC: BF0A4252
	s_cselect_b32 s20, s36, s60                                // 00000000F700: 85143C24
	v_readlane_b32 s82, v3, 1                                  // 00000000F704: D2890052 00010303
	s_and_b32 s82, s82, 0xffffff                               // 00000000F70C: 8652FF52 00FFFFFF
	s_cmp_lt_u32 s82, s66                                      // 00000000F714: BF0A4252
	s_cselect_b32 s21, s36, s60                                // 00000000F718: 85153C24
	s_mov_b64 exec, s[20:21]                                   // 00000000F71C: BEFE0114
	global_atomic_add_f32 v6, v132, s[8:9]                     // 00000000F720: DD348000 00088406
	global_atomic_add_f32 v6, v136, s[8:9] offset:256          // 00000000F728: DD348100 00088806
	s_mov_b64 exec, s[36:37]                                   // 00000000F730: BEFE0124
	v_mov_b32_e32 v6, v59                                      // 00000000F734: 7E0C033B
	s_mov_b64 s[60:61], 0                                      // 00000000F738: BEBC0180
	v_readlane_b32 s82, v3, 2                                  // 00000000F73C: D2890052 00010503
	s_and_b32 s82, s82, 0xffffff                               // 00000000F744: 8652FF52 00FFFFFF
	s_cmp_lt_u32 s82, s66                                      // 00000000F74C: BF0A4252
	s_cselect_b32 s20, s36, s60                                // 00000000F750: 85143C24
	v_readlane_b32 s82, v3, 3                                  // 00000000F754: D2890052 00010703
	s_and_b32 s82, s82, 0xffffff                               // 00000000F75C: 8652FF52 00FFFFFF
	s_cmp_lt_u32 s82, s66                                      // 00000000F764: BF0A4252
	s_cselect_b32 s21, s36, s60                                // 00000000F768: 85153C24
	s_mov_b64 exec, s[20:21]                                   // 00000000F76C: BEFE0114
	global_atomic_add_f32 v6, v133, s[8:9]                     // 00000000F770: DD348000 00088506
	global_atomic_add_f32 v6, v137, s[8:9] offset:256          // 00000000F778: DD348100 00088906
	s_mov_b64 exec, s[36:37]                                   // 00000000F780: BEFE0124
	v_mov_b32_e32 v6, v60                                      // 00000000F784: 7E0C033C
	s_mov_b64 s[60:61], 0                                      // 00000000F788: BEBC0180
	v_readlane_b32 s82, v3, 4                                  // 00000000F78C: D2890052 00010903
	s_and_b32 s82, s82, 0xffffff                               // 00000000F794: 8652FF52 00FFFFFF
	s_cmp_lt_u32 s82, s66                                      // 00000000F79C: BF0A4252
	s_cselect_b32 s20, s36, s60                                // 00000000F7A0: 85143C24
	v_readlane_b32 s82, v3, 5                                  // 00000000F7A4: D2890052 00010B03
	s_and_b32 s82, s82, 0xffffff                               // 00000000F7AC: 8652FF52 00FFFFFF
	s_cmp_lt_u32 s82, s66                                      // 00000000F7B4: BF0A4252
	s_cselect_b32 s21, s36, s60                                // 00000000F7B8: 85153C24
	s_mov_b64 exec, s[20:21]                                   // 00000000F7BC: BEFE0114
	global_atomic_add_f32 v6, v140, s[8:9]                     // 00000000F7C0: DD348000 00088C06
	global_atomic_add_f32 v6, v144, s[8:9] offset:256          // 00000000F7C8: DD348100 00089006
	s_mov_b64 exec, s[36:37]                                   // 00000000F7D0: BEFE0124
	v_mov_b32_e32 v6, v61                                      // 00000000F7D4: 7E0C033D
	s_mov_b64 s[60:61], 0                                      // 00000000F7D8: BEBC0180
	v_readlane_b32 s82, v3, 6                                  // 00000000F7DC: D2890052 00010D03
	s_and_b32 s82, s82, 0xffffff                               // 00000000F7E4: 8652FF52 00FFFFFF
	s_cmp_lt_u32 s82, s66                                      // 00000000F7EC: BF0A4252
	s_cselect_b32 s20, s36, s60                                // 00000000F7F0: 85143C24
	v_readlane_b32 s82, v3, 7                                  // 00000000F7F4: D2890052 00010F03
	s_and_b32 s82, s82, 0xffffff                               // 00000000F7FC: 8652FF52 00FFFFFF
	s_cmp_lt_u32 s82, s66                                      // 00000000F804: BF0A4252
	s_cselect_b32 s21, s36, s60                                // 00000000F808: 85153C24
	s_mov_b64 exec, s[20:21]                                   // 00000000F80C: BEFE0114
	global_atomic_add_f32 v6, v141, s[8:9]                     // 00000000F810: DD348000 00088D06
	global_atomic_add_f32 v6, v145, s[8:9] offset:256          // 00000000F818: DD348100 00089106
	s_mov_b64 exec, s[36:37]                                   // 00000000F820: BEFE0124
	v_mov_b32_e32 v6, v62                                      // 00000000F824: 7E0C033E
	s_mov_b64 s[60:61], 0                                      // 00000000F828: BEBC0180
	v_readlane_b32 s82, v3, 8                                  // 00000000F82C: D2890052 00011103
	s_and_b32 s82, s82, 0xffffff                               // 00000000F834: 8652FF52 00FFFFFF
	s_cmp_lt_u32 s82, s66                                      // 00000000F83C: BF0A4252
	s_cselect_b32 s20, s36, s60                                // 00000000F840: 85143C24
	v_readlane_b32 s82, v3, 9                                  // 00000000F844: D2890052 00011303
	s_and_b32 s82, s82, 0xffffff                               // 00000000F84C: 8652FF52 00FFFFFF
	s_cmp_lt_u32 s82, s66                                      // 00000000F854: BF0A4252
	s_cselect_b32 s21, s36, s60                                // 00000000F858: 85153C24
	s_mov_b64 exec, s[20:21]                                   // 00000000F85C: BEFE0114
	global_atomic_add_f32 v6, v148, s[8:9]                     // 00000000F860: DD348000 00089406
	global_atomic_add_f32 v6, v152, s[8:9] offset:256          // 00000000F868: DD348100 00089806
	s_mov_b64 exec, s[36:37]                                   // 00000000F870: BEFE0124
	v_mov_b32_e32 v6, v63                                      // 00000000F874: 7E0C033F
	s_mov_b64 s[60:61], 0                                      // 00000000F878: BEBC0180
	v_readlane_b32 s82, v3, 10                                 // 00000000F87C: D2890052 00011503
	s_and_b32 s82, s82, 0xffffff                               // 00000000F884: 8652FF52 00FFFFFF
	s_cmp_lt_u32 s82, s66                                      // 00000000F88C: BF0A4252
	s_cselect_b32 s20, s36, s60                                // 00000000F890: 85143C24
	v_readlane_b32 s82, v3, 11                                 // 00000000F894: D2890052 00011703
	s_and_b32 s82, s82, 0xffffff                               // 00000000F89C: 8652FF52 00FFFFFF
	s_cmp_lt_u32 s82, s66                                      // 00000000F8A4: BF0A4252
	s_cselect_b32 s21, s36, s60                                // 00000000F8A8: 85153C24
	s_mov_b64 exec, s[20:21]                                   // 00000000F8AC: BEFE0114
	global_atomic_add_f32 v6, v149, s[8:9]                     // 00000000F8B0: DD348000 00089506
	global_atomic_add_f32 v6, v153, s[8:9] offset:256          // 00000000F8B8: DD348100 00089906
	s_mov_b64 exec, s[36:37]                                   // 00000000F8C0: BEFE0124
	v_mov_b32_e32 v6, v64                                      // 00000000F8C4: 7E0C0340
	s_mov_b64 s[60:61], 0                                      // 00000000F8C8: BEBC0180
	v_readlane_b32 s82, v3, 12                                 // 00000000F8CC: D2890052 00011903
	s_and_b32 s82, s82, 0xffffff                               // 00000000F8D4: 8652FF52 00FFFFFF
	s_cmp_lt_u32 s82, s66                                      // 00000000F8DC: BF0A4252
	s_cselect_b32 s20, s36, s60                                // 00000000F8E0: 85143C24
	v_readlane_b32 s82, v3, 13                                 // 00000000F8E4: D2890052 00011B03
	s_and_b32 s82, s82, 0xffffff                               // 00000000F8EC: 8652FF52 00FFFFFF
	s_cmp_lt_u32 s82, s66                                      // 00000000F8F4: BF0A4252
	s_cselect_b32 s21, s36, s60                                // 00000000F8F8: 85153C24
	s_mov_b64 exec, s[20:21]                                   // 00000000F8FC: BEFE0114
	global_atomic_add_f32 v6, v156, s[8:9]                     // 00000000F900: DD348000 00089C06
	global_atomic_add_f32 v6, v160, s[8:9] offset:256          // 00000000F908: DD348100 0008A006
	s_mov_b64 exec, s[36:37]                                   // 00000000F910: BEFE0124
	v_mov_b32_e32 v6, v65                                      // 00000000F914: 7E0C0341
	s_mov_b64 s[60:61], 0                                      // 00000000F918: BEBC0180
	v_readlane_b32 s82, v3, 14                                 // 00000000F91C: D2890052 00011D03
	s_and_b32 s82, s82, 0xffffff                               // 00000000F924: 8652FF52 00FFFFFF
	s_cmp_lt_u32 s82, s66                                      // 00000000F92C: BF0A4252
	s_cselect_b32 s20, s36, s60                                // 00000000F930: 85143C24
	v_readlane_b32 s82, v3, 15                                 // 00000000F934: D2890052 00011F03
	s_and_b32 s82, s82, 0xffffff                               // 00000000F93C: 8652FF52 00FFFFFF
	s_cmp_lt_u32 s82, s66                                      // 00000000F944: BF0A4252
	s_cselect_b32 s21, s36, s60                                // 00000000F948: 85153C24
	s_mov_b64 exec, s[20:21]                                   // 00000000F94C: BEFE0114
	global_atomic_add_f32 v6, v157, s[8:9]                     // 00000000F950: DD348000 00089D06
	global_atomic_add_f32 v6, v161, s[8:9] offset:256          // 00000000F958: DD348100 0008A106
	s_mov_b64 exec, s[36:37]                                   // 00000000F960: BEFE0124
	v_mov_b32_e32 v6, v66                                      // 00000000F964: 7E0C0342
	s_mov_b64 s[60:61], 0                                      // 00000000F968: BEBC0180
	v_readlane_b32 s82, v3, 16                                 // 00000000F96C: D2890052 00012103
	s_and_b32 s82, s82, 0xffffff                               // 00000000F974: 8652FF52 00FFFFFF
	s_cmp_lt_u32 s82, s66                                      // 00000000F97C: BF0A4252
	s_cselect_b32 s20, s36, s60                                // 00000000F980: 85143C24
	v_readlane_b32 s82, v3, 17                                 // 00000000F984: D2890052 00012303
	s_and_b32 s82, s82, 0xffffff                               // 00000000F98C: 8652FF52 00FFFFFF
	s_cmp_lt_u32 s82, s66                                      // 00000000F994: BF0A4252
	s_cselect_b32 s21, s36, s60                                // 00000000F998: 85153C24
	s_mov_b64 exec, s[20:21]                                   // 00000000F99C: BEFE0114
	global_atomic_add_f32 v6, v164, s[8:9]                     // 00000000F9A0: DD348000 0008A406
	global_atomic_add_f32 v6, v168, s[8:9] offset:256          // 00000000F9A8: DD348100 0008A806
	s_mov_b64 exec, s[36:37]                                   // 00000000F9B0: BEFE0124
	v_mov_b32_e32 v6, v67                                      // 00000000F9B4: 7E0C0343
	s_mov_b64 s[60:61], 0                                      // 00000000F9B8: BEBC0180
	v_readlane_b32 s82, v3, 18                                 // 00000000F9BC: D2890052 00012503
	s_and_b32 s82, s82, 0xffffff                               // 00000000F9C4: 8652FF52 00FFFFFF
	s_cmp_lt_u32 s82, s66                                      // 00000000F9CC: BF0A4252
	s_cselect_b32 s20, s36, s60                                // 00000000F9D0: 85143C24
	v_readlane_b32 s82, v3, 19                                 // 00000000F9D4: D2890052 00012703
	s_and_b32 s82, s82, 0xffffff                               // 00000000F9DC: 8652FF52 00FFFFFF
	s_cmp_lt_u32 s82, s66                                      // 00000000F9E4: BF0A4252
	s_cselect_b32 s21, s36, s60                                // 00000000F9E8: 85153C24
	s_mov_b64 exec, s[20:21]                                   // 00000000F9EC: BEFE0114
	global_atomic_add_f32 v6, v165, s[8:9]                     // 00000000F9F0: DD348000 0008A506
	global_atomic_add_f32 v6, v169, s[8:9] offset:256          // 00000000F9F8: DD348100 0008A906
	s_mov_b64 exec, s[36:37]                                   // 00000000FA00: BEFE0124
	v_mov_b32_e32 v6, v68                                      // 00000000FA04: 7E0C0344
	s_mov_b64 s[60:61], 0                                      // 00000000FA08: BEBC0180
	v_readlane_b32 s82, v3, 20                                 // 00000000FA0C: D2890052 00012903
	s_and_b32 s82, s82, 0xffffff                               // 00000000FA14: 8652FF52 00FFFFFF
	s_cmp_lt_u32 s82, s66                                      // 00000000FA1C: BF0A4252
	s_cselect_b32 s20, s36, s60                                // 00000000FA20: 85143C24
	v_readlane_b32 s82, v3, 21                                 // 00000000FA24: D2890052 00012B03
	s_and_b32 s82, s82, 0xffffff                               // 00000000FA2C: 8652FF52 00FFFFFF
	s_cmp_lt_u32 s82, s66                                      // 00000000FA34: BF0A4252
	s_cselect_b32 s21, s36, s60                                // 00000000FA38: 85153C24
	s_mov_b64 exec, s[20:21]                                   // 00000000FA3C: BEFE0114
	global_atomic_add_f32 v6, v172, s[8:9]                     // 00000000FA40: DD348000 0008AC06
	global_atomic_add_f32 v6, v176, s[8:9] offset:256          // 00000000FA48: DD348100 0008B006
	s_mov_b64 exec, s[36:37]                                   // 00000000FA50: BEFE0124
	v_mov_b32_e32 v6, v69                                      // 00000000FA54: 7E0C0345
	s_mov_b64 s[60:61], 0                                      // 00000000FA58: BEBC0180
	v_readlane_b32 s82, v3, 22                                 // 00000000FA5C: D2890052 00012D03
	s_and_b32 s82, s82, 0xffffff                               // 00000000FA64: 8652FF52 00FFFFFF
	s_cmp_lt_u32 s82, s66                                      // 00000000FA6C: BF0A4252
	s_cselect_b32 s20, s36, s60                                // 00000000FA70: 85143C24
	v_readlane_b32 s82, v3, 23                                 // 00000000FA74: D2890052 00012F03
	s_and_b32 s82, s82, 0xffffff                               // 00000000FA7C: 8652FF52 00FFFFFF
	s_cmp_lt_u32 s82, s66                                      // 00000000FA84: BF0A4252
	s_cselect_b32 s21, s36, s60                                // 00000000FA88: 85153C24
	s_mov_b64 exec, s[20:21]                                   // 00000000FA8C: BEFE0114
	global_atomic_add_f32 v6, v173, s[8:9]                     // 00000000FA90: DD348000 0008AD06
	global_atomic_add_f32 v6, v177, s[8:9] offset:256          // 00000000FA98: DD348100 0008B106
	s_mov_b64 exec, s[36:37]                                   // 00000000FAA0: BEFE0124
	v_mov_b32_e32 v6, v70                                      // 00000000FAA4: 7E0C0346
	s_mov_b64 s[60:61], 0                                      // 00000000FAA8: BEBC0180
	v_readlane_b32 s82, v3, 24                                 // 00000000FAAC: D2890052 00013103
	s_and_b32 s82, s82, 0xffffff                               // 00000000FAB4: 8652FF52 00FFFFFF
	s_cmp_lt_u32 s82, s66                                      // 00000000FABC: BF0A4252
	s_cselect_b32 s20, s36, s60                                // 00000000FAC0: 85143C24
	v_readlane_b32 s82, v3, 25                                 // 00000000FAC4: D2890052 00013303
	s_and_b32 s82, s82, 0xffffff                               // 00000000FACC: 8652FF52 00FFFFFF
	s_cmp_lt_u32 s82, s66                                      // 00000000FAD4: BF0A4252
	s_cselect_b32 s21, s36, s60                                // 00000000FAD8: 85153C24
	s_mov_b64 exec, s[20:21]                                   // 00000000FADC: BEFE0114
	global_atomic_add_f32 v6, v180, s[8:9]                     // 00000000FAE0: DD348000 0008B406
	global_atomic_add_f32 v6, v184, s[8:9] offset:256          // 00000000FAE8: DD348100 0008B806
	s_mov_b64 exec, s[36:37]                                   // 00000000FAF0: BEFE0124
	v_mov_b32_e32 v6, v71                                      // 00000000FAF4: 7E0C0347
	s_mov_b64 s[60:61], 0                                      // 00000000FAF8: BEBC0180
	v_readlane_b32 s82, v3, 26                                 // 00000000FAFC: D2890052 00013503
	s_and_b32 s82, s82, 0xffffff                               // 00000000FB04: 8652FF52 00FFFFFF
	s_cmp_lt_u32 s82, s66                                      // 00000000FB0C: BF0A4252
	s_cselect_b32 s20, s36, s60                                // 00000000FB10: 85143C24
	v_readlane_b32 s82, v3, 27                                 // 00000000FB14: D2890052 00013703
	s_and_b32 s82, s82, 0xffffff                               // 00000000FB1C: 8652FF52 00FFFFFF
	s_cmp_lt_u32 s82, s66                                      // 00000000FB24: BF0A4252
	s_cselect_b32 s21, s36, s60                                // 00000000FB28: 85153C24
	s_mov_b64 exec, s[20:21]                                   // 00000000FB2C: BEFE0114
	global_atomic_add_f32 v6, v181, s[8:9]                     // 00000000FB30: DD348000 0008B506
	global_atomic_add_f32 v6, v185, s[8:9] offset:256          // 00000000FB38: DD348100 0008B906
	s_mov_b64 exec, s[36:37]                                   // 00000000FB40: BEFE0124
	ds_write_b64 v20, v[134:135]                               // 00000000FB44: D89A0000 00008614
	ds_write_b64 v20, v[138:139] offset:4352                   // 00000000FB4C: D89A1100 00008A14
	ds_write_b64 v20, v[142:143] offset:8704                   // 00000000FB54: D89A2200 00008E14
	ds_write_b64 v20, v[146:147] offset:13056                  // 00000000FB5C: D89A3300 00009214
	ds_write_b64 v20, v[150:151] offset:17408                  // 00000000FB64: D89A4400 00009614
	ds_write_b64 v20, v[154:155] offset:21760                  // 00000000FB6C: D89A5500 00009A14
	ds_write_b64 v20, v[158:159] offset:26112                  // 00000000FB74: D89A6600 00009E14
	ds_write_b64 v20, v[162:163] offset:2176                   // 00000000FB7C: D89A0880 0000A214
	ds_write_b64 v20, v[166:167] offset:6528                   // 00000000FB84: D89A1980 0000A614
	ds_write_b64 v20, v[170:171] offset:10880                  // 00000000FB8C: D89A2A80 0000AA14
	ds_write_b64 v20, v[174:175] offset:15232                  // 00000000FB94: D89A3B80 0000AE14
	ds_write_b64 v20, v[178:179] offset:19584                  // 00000000FB9C: D89A4C80 0000B214
	ds_write_b64 v20, v[182:183] offset:23936                  // 00000000FBA4: D89A5D80 0000B614
	ds_write_b64 v20, v[186:187] offset:28288                  // 00000000FBAC: D89A6E80 0000BA14
	s_waitcnt lgkmcnt(0)                                       // 00000000FBB4: BF8CC07F
	s_barrier                                                  // 00000000FBB8: BF8A0000
	ds_read_b32 v134, v21                                      // 00000000FBBC: D86C0000 86000015
	ds_read_b32 v135, v21 offset:64                            // 00000000FBC4: D86C0040 87000015
	ds_read_b32 v138, v21 offset:2176                          // 00000000FBCC: D86C0880 8A000015
	ds_read_b32 v139, v21 offset:2240                          // 00000000FBD4: D86C08C0 8B000015
	ds_read_b32 v142, v21 offset:4352                          // 00000000FBDC: D86C1100 8E000015
	ds_read_b32 v143, v21 offset:4416                          // 00000000FBE4: D86C1140 8F000015
	ds_read_b32 v146, v21 offset:6528                          // 00000000FBEC: D86C1980 92000015
	ds_read_b32 v147, v21 offset:6592                          // 00000000FBF4: D86C19C0 93000015
	ds_read_b32 v150, v21 offset:8704                          // 00000000FBFC: D86C2200 96000015
	ds_read_b32 v151, v21 offset:8768                          // 00000000FC04: D86C2240 97000015
	ds_read_b32 v154, v21 offset:10880                         // 00000000FC0C: D86C2A80 9A000015
	ds_read_b32 v155, v21 offset:10944                         // 00000000FC14: D86C2AC0 9B000015
	ds_read_b32 v158, v21 offset:13056                         // 00000000FC1C: D86C3300 9E000015
	ds_read_b32 v159, v21 offset:13120                         // 00000000FC24: D86C3340 9F000015
	ds_read_b32 v162, v21 offset:15232                         // 00000000FC2C: D86C3B80 A2000015
	ds_read_b32 v163, v21 offset:15296                         // 00000000FC34: D86C3BC0 A3000015
	ds_read_b32 v166, v21 offset:17408                         // 00000000FC3C: D86C4400 A6000015
	ds_read_b32 v167, v21 offset:17472                         // 00000000FC44: D86C4440 A7000015
	ds_read_b32 v170, v21 offset:19584                         // 00000000FC4C: D86C4C80 AA000015
	ds_read_b32 v171, v21 offset:19648                         // 00000000FC54: D86C4CC0 AB000015
	ds_read_b32 v174, v21 offset:21760                         // 00000000FC5C: D86C5500 AE000015
	ds_read_b32 v175, v21 offset:21824                         // 00000000FC64: D86C5540 AF000015
	ds_read_b32 v178, v21 offset:23936                         // 00000000FC6C: D86C5D80 B2000015
	ds_read_b32 v179, v21 offset:24000                         // 00000000FC74: D86C5DC0 B3000015
	ds_read_b32 v182, v21 offset:26112                         // 00000000FC7C: D86C6600 B6000015
	ds_read_b32 v183, v21 offset:26176                         // 00000000FC84: D86C6640 B7000015
	ds_read_b32 v186, v21 offset:28288                         // 00000000FC8C: D86C6E80 BA000015
	ds_read_b32 v187, v21 offset:28352                         // 00000000FC94: D86C6EC0 BB000015
	s_waitcnt lgkmcnt(0)                                       // 00000000FC9C: BF8CC07F
	v_mov_b32_e32 v7, 0                                        // 00000000FCA0: 7E0E0280
	s_mov_b64 exec, s[36:37]                                   // 00000000FCA4: BEFE0124
	v_mov_b32_e32 v6, v58                                      // 00000000FCA8: 7E0C033A
	s_mov_b64 s[60:61], 0                                      // 00000000FCAC: BEBC0180
	v_readlane_b32 s82, v3, 0                                  // 00000000FCB0: D2890052 00010103
	s_and_b32 s82, s82, 0xffffff                               // 00000000FCB8: 8652FF52 00FFFFFF
	s_cmp_lt_u32 s82, s66                                      // 00000000FCC0: BF0A4252
	s_cselect_b32 s20, s36, s60                                // 00000000FCC4: 85143C24
	v_readlane_b32 s82, v3, 1                                  // 00000000FCC8: D2890052 00010303
	s_and_b32 s82, s82, 0xffffff                               // 00000000FCD0: 8652FF52 00FFFFFF
	s_cmp_lt_u32 s82, s66                                      // 00000000FCD8: BF0A4252
	s_cselect_b32 s21, s36, s60                                // 00000000FCDC: 85153C24
	s_mov_b64 exec, s[20:21]                                   // 00000000FCE0: BEFE0114
	global_atomic_add_f32 v6, v134, s[8:9] offset:8            // 00000000FCE4: DD348008 00088606
	global_atomic_add_f32 v6, v138, s[8:9] offset:264          // 00000000FCEC: DD348108 00088A06
	s_mov_b64 exec, s[36:37]                                   // 00000000FCF4: BEFE0124
	v_mov_b32_e32 v6, v59                                      // 00000000FCF8: 7E0C033B
	s_mov_b64 s[60:61], 0                                      // 00000000FCFC: BEBC0180
	v_readlane_b32 s82, v3, 2                                  // 00000000FD00: D2890052 00010503
	s_and_b32 s82, s82, 0xffffff                               // 00000000FD08: 8652FF52 00FFFFFF
	s_cmp_lt_u32 s82, s66                                      // 00000000FD10: BF0A4252
	s_cselect_b32 s20, s36, s60                                // 00000000FD14: 85143C24
	v_readlane_b32 s82, v3, 3                                  // 00000000FD18: D2890052 00010703
	s_and_b32 s82, s82, 0xffffff                               // 00000000FD20: 8652FF52 00FFFFFF
	s_cmp_lt_u32 s82, s66                                      // 00000000FD28: BF0A4252
	s_cselect_b32 s21, s36, s60                                // 00000000FD2C: 85153C24
	s_mov_b64 exec, s[20:21]                                   // 00000000FD30: BEFE0114
	global_atomic_add_f32 v6, v135, s[8:9] offset:8            // 00000000FD34: DD348008 00088706
	global_atomic_add_f32 v6, v139, s[8:9] offset:264          // 00000000FD3C: DD348108 00088B06
	s_mov_b64 exec, s[36:37]                                   // 00000000FD44: BEFE0124
	v_mov_b32_e32 v6, v60                                      // 00000000FD48: 7E0C033C
	s_mov_b64 s[60:61], 0                                      // 00000000FD4C: BEBC0180
	v_readlane_b32 s82, v3, 4                                  // 00000000FD50: D2890052 00010903
	s_and_b32 s82, s82, 0xffffff                               // 00000000FD58: 8652FF52 00FFFFFF
	s_cmp_lt_u32 s82, s66                                      // 00000000FD60: BF0A4252
	s_cselect_b32 s20, s36, s60                                // 00000000FD64: 85143C24
	v_readlane_b32 s82, v3, 5                                  // 00000000FD68: D2890052 00010B03
	s_and_b32 s82, s82, 0xffffff                               // 00000000FD70: 8652FF52 00FFFFFF
	s_cmp_lt_u32 s82, s66                                      // 00000000FD78: BF0A4252
	s_cselect_b32 s21, s36, s60                                // 00000000FD7C: 85153C24
	s_mov_b64 exec, s[20:21]                                   // 00000000FD80: BEFE0114
	global_atomic_add_f32 v6, v142, s[8:9] offset:8            // 00000000FD84: DD348008 00088E06
	global_atomic_add_f32 v6, v146, s[8:9] offset:264          // 00000000FD8C: DD348108 00089206
	s_mov_b64 exec, s[36:37]                                   // 00000000FD94: BEFE0124
	v_mov_b32_e32 v6, v61                                      // 00000000FD98: 7E0C033D
	s_mov_b64 s[60:61], 0                                      // 00000000FD9C: BEBC0180
	v_readlane_b32 s82, v3, 6                                  // 00000000FDA0: D2890052 00010D03
	s_and_b32 s82, s82, 0xffffff                               // 00000000FDA8: 8652FF52 00FFFFFF
	s_cmp_lt_u32 s82, s66                                      // 00000000FDB0: BF0A4252
	s_cselect_b32 s20, s36, s60                                // 00000000FDB4: 85143C24
	v_readlane_b32 s82, v3, 7                                  // 00000000FDB8: D2890052 00010F03
	s_and_b32 s82, s82, 0xffffff                               // 00000000FDC0: 8652FF52 00FFFFFF
	s_cmp_lt_u32 s82, s66                                      // 00000000FDC8: BF0A4252
	s_cselect_b32 s21, s36, s60                                // 00000000FDCC: 85153C24
	s_mov_b64 exec, s[20:21]                                   // 00000000FDD0: BEFE0114
	global_atomic_add_f32 v6, v143, s[8:9] offset:8            // 00000000FDD4: DD348008 00088F06
	global_atomic_add_f32 v6, v147, s[8:9] offset:264          // 00000000FDDC: DD348108 00089306
	s_mov_b64 exec, s[36:37]                                   // 00000000FDE4: BEFE0124
	v_mov_b32_e32 v6, v62                                      // 00000000FDE8: 7E0C033E
	s_mov_b64 s[60:61], 0                                      // 00000000FDEC: BEBC0180
	v_readlane_b32 s82, v3, 8                                  // 00000000FDF0: D2890052 00011103
	s_and_b32 s82, s82, 0xffffff                               // 00000000FDF8: 8652FF52 00FFFFFF
	s_cmp_lt_u32 s82, s66                                      // 00000000FE00: BF0A4252
	s_cselect_b32 s20, s36, s60                                // 00000000FE04: 85143C24
	v_readlane_b32 s82, v3, 9                                  // 00000000FE08: D2890052 00011303
	s_and_b32 s82, s82, 0xffffff                               // 00000000FE10: 8652FF52 00FFFFFF
	s_cmp_lt_u32 s82, s66                                      // 00000000FE18: BF0A4252
	s_cselect_b32 s21, s36, s60                                // 00000000FE1C: 85153C24
	s_mov_b64 exec, s[20:21]                                   // 00000000FE20: BEFE0114
	global_atomic_add_f32 v6, v150, s[8:9] offset:8            // 00000000FE24: DD348008 00089606
	global_atomic_add_f32 v6, v154, s[8:9] offset:264          // 00000000FE2C: DD348108 00089A06
	s_mov_b64 exec, s[36:37]                                   // 00000000FE34: BEFE0124
	v_mov_b32_e32 v6, v63                                      // 00000000FE38: 7E0C033F
	s_mov_b64 s[60:61], 0                                      // 00000000FE3C: BEBC0180
	v_readlane_b32 s82, v3, 10                                 // 00000000FE40: D2890052 00011503
	s_and_b32 s82, s82, 0xffffff                               // 00000000FE48: 8652FF52 00FFFFFF
	s_cmp_lt_u32 s82, s66                                      // 00000000FE50: BF0A4252
	s_cselect_b32 s20, s36, s60                                // 00000000FE54: 85143C24
	v_readlane_b32 s82, v3, 11                                 // 00000000FE58: D2890052 00011703
	s_and_b32 s82, s82, 0xffffff                               // 00000000FE60: 8652FF52 00FFFFFF
	s_cmp_lt_u32 s82, s66                                      // 00000000FE68: BF0A4252
	s_cselect_b32 s21, s36, s60                                // 00000000FE6C: 85153C24
	s_mov_b64 exec, s[20:21]                                   // 00000000FE70: BEFE0114
	global_atomic_add_f32 v6, v151, s[8:9] offset:8            // 00000000FE74: DD348008 00089706
	global_atomic_add_f32 v6, v155, s[8:9] offset:264          // 00000000FE7C: DD348108 00089B06
	s_mov_b64 exec, s[36:37]                                   // 00000000FE84: BEFE0124
	v_mov_b32_e32 v6, v64                                      // 00000000FE88: 7E0C0340
	s_mov_b64 s[60:61], 0                                      // 00000000FE8C: BEBC0180
	v_readlane_b32 s82, v3, 12                                 // 00000000FE90: D2890052 00011903
	s_and_b32 s82, s82, 0xffffff                               // 00000000FE98: 8652FF52 00FFFFFF
	s_cmp_lt_u32 s82, s66                                      // 00000000FEA0: BF0A4252
	s_cselect_b32 s20, s36, s60                                // 00000000FEA4: 85143C24
	v_readlane_b32 s82, v3, 13                                 // 00000000FEA8: D2890052 00011B03
	s_and_b32 s82, s82, 0xffffff                               // 00000000FEB0: 8652FF52 00FFFFFF
	s_cmp_lt_u32 s82, s66                                      // 00000000FEB8: BF0A4252
	s_cselect_b32 s21, s36, s60                                // 00000000FEBC: 85153C24
	s_mov_b64 exec, s[20:21]                                   // 00000000FEC0: BEFE0114
	global_atomic_add_f32 v6, v158, s[8:9] offset:8            // 00000000FEC4: DD348008 00089E06
	global_atomic_add_f32 v6, v162, s[8:9] offset:264          // 00000000FECC: DD348108 0008A206
	s_mov_b64 exec, s[36:37]                                   // 00000000FED4: BEFE0124
	v_mov_b32_e32 v6, v65                                      // 00000000FED8: 7E0C0341
	s_mov_b64 s[60:61], 0                                      // 00000000FEDC: BEBC0180
	v_readlane_b32 s82, v3, 14                                 // 00000000FEE0: D2890052 00011D03
	s_and_b32 s82, s82, 0xffffff                               // 00000000FEE8: 8652FF52 00FFFFFF
	s_cmp_lt_u32 s82, s66                                      // 00000000FEF0: BF0A4252
	s_cselect_b32 s20, s36, s60                                // 00000000FEF4: 85143C24
	v_readlane_b32 s82, v3, 15                                 // 00000000FEF8: D2890052 00011F03
	s_and_b32 s82, s82, 0xffffff                               // 00000000FF00: 8652FF52 00FFFFFF
	s_cmp_lt_u32 s82, s66                                      // 00000000FF08: BF0A4252
	s_cselect_b32 s21, s36, s60                                // 00000000FF0C: 85153C24
	s_mov_b64 exec, s[20:21]                                   // 00000000FF10: BEFE0114
	global_atomic_add_f32 v6, v159, s[8:9] offset:8            // 00000000FF14: DD348008 00089F06
	global_atomic_add_f32 v6, v163, s[8:9] offset:264          // 00000000FF1C: DD348108 0008A306
	s_mov_b64 exec, s[36:37]                                   // 00000000FF24: BEFE0124
	v_mov_b32_e32 v6, v66                                      // 00000000FF28: 7E0C0342
	s_mov_b64 s[60:61], 0                                      // 00000000FF2C: BEBC0180
	v_readlane_b32 s82, v3, 16                                 // 00000000FF30: D2890052 00012103
	s_and_b32 s82, s82, 0xffffff                               // 00000000FF38: 8652FF52 00FFFFFF
	s_cmp_lt_u32 s82, s66                                      // 00000000FF40: BF0A4252
	s_cselect_b32 s20, s36, s60                                // 00000000FF44: 85143C24
	v_readlane_b32 s82, v3, 17                                 // 00000000FF48: D2890052 00012303
	s_and_b32 s82, s82, 0xffffff                               // 00000000FF50: 8652FF52 00FFFFFF
	s_cmp_lt_u32 s82, s66                                      // 00000000FF58: BF0A4252
	s_cselect_b32 s21, s36, s60                                // 00000000FF5C: 85153C24
	s_mov_b64 exec, s[20:21]                                   // 00000000FF60: BEFE0114
	global_atomic_add_f32 v6, v166, s[8:9] offset:8            // 00000000FF64: DD348008 0008A606
	global_atomic_add_f32 v6, v170, s[8:9] offset:264          // 00000000FF6C: DD348108 0008AA06
	s_mov_b64 exec, s[36:37]                                   // 00000000FF74: BEFE0124
	v_mov_b32_e32 v6, v67                                      // 00000000FF78: 7E0C0343
	s_mov_b64 s[60:61], 0                                      // 00000000FF7C: BEBC0180
	v_readlane_b32 s82, v3, 18                                 // 00000000FF80: D2890052 00012503
	s_and_b32 s82, s82, 0xffffff                               // 00000000FF88: 8652FF52 00FFFFFF
	s_cmp_lt_u32 s82, s66                                      // 00000000FF90: BF0A4252
	s_cselect_b32 s20, s36, s60                                // 00000000FF94: 85143C24
	v_readlane_b32 s82, v3, 19                                 // 00000000FF98: D2890052 00012703
	s_and_b32 s82, s82, 0xffffff                               // 00000000FFA0: 8652FF52 00FFFFFF
	s_cmp_lt_u32 s82, s66                                      // 00000000FFA8: BF0A4252
	s_cselect_b32 s21, s36, s60                                // 00000000FFAC: 85153C24
	s_mov_b64 exec, s[20:21]                                   // 00000000FFB0: BEFE0114
	global_atomic_add_f32 v6, v167, s[8:9] offset:8            // 00000000FFB4: DD348008 0008A706
	global_atomic_add_f32 v6, v171, s[8:9] offset:264          // 00000000FFBC: DD348108 0008AB06
	s_mov_b64 exec, s[36:37]                                   // 00000000FFC4: BEFE0124
	v_mov_b32_e32 v6, v68                                      // 00000000FFC8: 7E0C0344
	s_mov_b64 s[60:61], 0                                      // 00000000FFCC: BEBC0180
	v_readlane_b32 s82, v3, 20                                 // 00000000FFD0: D2890052 00012903
	s_and_b32 s82, s82, 0xffffff                               // 00000000FFD8: 8652FF52 00FFFFFF
	s_cmp_lt_u32 s82, s66                                      // 00000000FFE0: BF0A4252
	s_cselect_b32 s20, s36, s60                                // 00000000FFE4: 85143C24
	v_readlane_b32 s82, v3, 21                                 // 00000000FFE8: D2890052 00012B03
	s_and_b32 s82, s82, 0xffffff                               // 00000000FFF0: 8652FF52 00FFFFFF
	s_cmp_lt_u32 s82, s66                                      // 00000000FFF8: BF0A4252
	s_cselect_b32 s21, s36, s60                                // 00000000FFFC: 85153C24
	s_mov_b64 exec, s[20:21]                                   // 000000010000: BEFE0114
	global_atomic_add_f32 v6, v174, s[8:9] offset:8            // 000000010004: DD348008 0008AE06
	global_atomic_add_f32 v6, v178, s[8:9] offset:264          // 00000001000C: DD348108 0008B206
	s_mov_b64 exec, s[36:37]                                   // 000000010014: BEFE0124
	v_mov_b32_e32 v6, v69                                      // 000000010018: 7E0C0345
	s_mov_b64 s[60:61], 0                                      // 00000001001C: BEBC0180
	v_readlane_b32 s82, v3, 22                                 // 000000010020: D2890052 00012D03
	s_and_b32 s82, s82, 0xffffff                               // 000000010028: 8652FF52 00FFFFFF
	s_cmp_lt_u32 s82, s66                                      // 000000010030: BF0A4252
	s_cselect_b32 s20, s36, s60                                // 000000010034: 85143C24
	v_readlane_b32 s82, v3, 23                                 // 000000010038: D2890052 00012F03
	s_and_b32 s82, s82, 0xffffff                               // 000000010040: 8652FF52 00FFFFFF
	s_cmp_lt_u32 s82, s66                                      // 000000010048: BF0A4252
	s_cselect_b32 s21, s36, s60                                // 00000001004C: 85153C24
	s_mov_b64 exec, s[20:21]                                   // 000000010050: BEFE0114
	global_atomic_add_f32 v6, v175, s[8:9] offset:8            // 000000010054: DD348008 0008AF06
	global_atomic_add_f32 v6, v179, s[8:9] offset:264          // 00000001005C: DD348108 0008B306
	s_mov_b64 exec, s[36:37]                                   // 000000010064: BEFE0124
	v_mov_b32_e32 v6, v70                                      // 000000010068: 7E0C0346
	s_mov_b64 s[60:61], 0                                      // 00000001006C: BEBC0180
	v_readlane_b32 s82, v3, 24                                 // 000000010070: D2890052 00013103
	s_and_b32 s82, s82, 0xffffff                               // 000000010078: 8652FF52 00FFFFFF
	s_cmp_lt_u32 s82, s66                                      // 000000010080: BF0A4252
	s_cselect_b32 s20, s36, s60                                // 000000010084: 85143C24
	v_readlane_b32 s82, v3, 25                                 // 000000010088: D2890052 00013303
	s_and_b32 s82, s82, 0xffffff                               // 000000010090: 8652FF52 00FFFFFF
	s_cmp_lt_u32 s82, s66                                      // 000000010098: BF0A4252
	s_cselect_b32 s21, s36, s60                                // 00000001009C: 85153C24
	s_mov_b64 exec, s[20:21]                                   // 0000000100A0: BEFE0114
	global_atomic_add_f32 v6, v182, s[8:9] offset:8            // 0000000100A4: DD348008 0008B606
	global_atomic_add_f32 v6, v186, s[8:9] offset:264          // 0000000100AC: DD348108 0008BA06
	s_mov_b64 exec, s[36:37]                                   // 0000000100B4: BEFE0124
	v_mov_b32_e32 v6, v71                                      // 0000000100B8: 7E0C0347
	s_mov_b64 s[60:61], 0                                      // 0000000100BC: BEBC0180
	v_readlane_b32 s82, v3, 26                                 // 0000000100C0: D2890052 00013503
	s_and_b32 s82, s82, 0xffffff                               // 0000000100C8: 8652FF52 00FFFFFF
	s_cmp_lt_u32 s82, s66                                      // 0000000100D0: BF0A4252
	s_cselect_b32 s20, s36, s60                                // 0000000100D4: 85143C24
	v_readlane_b32 s82, v3, 27                                 // 0000000100D8: D2890052 00013703
	s_and_b32 s82, s82, 0xffffff                               // 0000000100E0: 8652FF52 00FFFFFF
	s_cmp_lt_u32 s82, s66                                      // 0000000100E8: BF0A4252
	s_cselect_b32 s21, s36, s60                                // 0000000100EC: 85153C24
	s_mov_b64 exec, s[20:21]                                   // 0000000100F0: BEFE0114
	global_atomic_add_f32 v6, v183, s[8:9] offset:8            // 0000000100F4: DD348008 0008B706
	global_atomic_add_f32 v6, v187, s[8:9] offset:264          // 0000000100FC: DD348108 0008BB06
	s_mov_b64 exec, s[36:37]                                   // 000000010104: BEFE0124
	s_branch label_35C6                                        // 000000010108: BF820000

000000000001010c <label_35C6>:
	s_waitcnt vmcnt(0) expcnt(0) lgkmcnt(0)                    // 00000001010C: BF8C0000
	s_endpgm                                                   // 000000010110: BF810000
